;; amdgpu-corpus repo=pytorch/pytorch kind=compiled arch=gfx90a opt=O3
	.text
	.amdgcn_target "amdgcn-amd-amdhsa--gfx90a"
	.amdhsa_code_object_version 6
	.section	.text._ZN2at6native12_GLOBAL__N_128conv_depthwise3d_cuda_kernelIddLi3ELi3ELi3ELi1ELi1ELi1EEEvN5torch10headeronly6detail27GenericPackedTensorAccessorINS5_14TensorAccessorIN3c108ArrayRefIlEEKT_Lm4ENS4_16DefaultPtrTraitsEiEENS_6detail16IndexBoundsCheckILm5EiEESC_Lm5ESD_iEENS6_INS7_ISA_SB_Lm4ESD_iEESH_SB_Lm5ESD_iEESI_PSC_iiiiiiiii,"axG",@progbits,_ZN2at6native12_GLOBAL__N_128conv_depthwise3d_cuda_kernelIddLi3ELi3ELi3ELi1ELi1ELi1EEEvN5torch10headeronly6detail27GenericPackedTensorAccessorINS5_14TensorAccessorIN3c108ArrayRefIlEEKT_Lm4ENS4_16DefaultPtrTraitsEiEENS_6detail16IndexBoundsCheckILm5EiEESC_Lm5ESD_iEENS6_INS7_ISA_SB_Lm4ESD_iEESH_SB_Lm5ESD_iEESI_PSC_iiiiiiiii,comdat
	.globl	_ZN2at6native12_GLOBAL__N_128conv_depthwise3d_cuda_kernelIddLi3ELi3ELi3ELi1ELi1ELi1EEEvN5torch10headeronly6detail27GenericPackedTensorAccessorINS5_14TensorAccessorIN3c108ArrayRefIlEEKT_Lm4ENS4_16DefaultPtrTraitsEiEENS_6detail16IndexBoundsCheckILm5EiEESC_Lm5ESD_iEENS6_INS7_ISA_SB_Lm4ESD_iEESH_SB_Lm5ESD_iEESI_PSC_iiiiiiiii ; -- Begin function _ZN2at6native12_GLOBAL__N_128conv_depthwise3d_cuda_kernelIddLi3ELi3ELi3ELi1ELi1ELi1EEEvN5torch10headeronly6detail27GenericPackedTensorAccessorINS5_14TensorAccessorIN3c108ArrayRefIlEEKT_Lm4ENS4_16DefaultPtrTraitsEiEENS_6detail16IndexBoundsCheckILm5EiEESC_Lm5ESD_iEENS6_INS7_ISA_SB_Lm4ESD_iEESH_SB_Lm5ESD_iEESI_PSC_iiiiiiiii
	.p2align	8
	.type	_ZN2at6native12_GLOBAL__N_128conv_depthwise3d_cuda_kernelIddLi3ELi3ELi3ELi1ELi1ELi1EEEvN5torch10headeronly6detail27GenericPackedTensorAccessorINS5_14TensorAccessorIN3c108ArrayRefIlEEKT_Lm4ENS4_16DefaultPtrTraitsEiEENS_6detail16IndexBoundsCheckILm5EiEESC_Lm5ESD_iEENS6_INS7_ISA_SB_Lm4ESD_iEESH_SB_Lm5ESD_iEESI_PSC_iiiiiiiii,@function
_ZN2at6native12_GLOBAL__N_128conv_depthwise3d_cuda_kernelIddLi3ELi3ELi3ELi1ELi1ELi1EEEvN5torch10headeronly6detail27GenericPackedTensorAccessorINS5_14TensorAccessorIN3c108ArrayRefIlEEKT_Lm4ENS4_16DefaultPtrTraitsEiEENS_6detail16IndexBoundsCheckILm5EiEESC_Lm5ESD_iEENS6_INS7_ISA_SB_Lm4ESD_iEESH_SB_Lm5ESD_iEESI_PSC_iiiiiiiii: ; @_ZN2at6native12_GLOBAL__N_128conv_depthwise3d_cuda_kernelIddLi3ELi3ELi3ELi1ELi1ELi1EEEvN5torch10headeronly6detail27GenericPackedTensorAccessorINS5_14TensorAccessorIN3c108ArrayRefIlEEKT_Lm4ENS4_16DefaultPtrTraitsEiEENS_6detail16IndexBoundsCheckILm5EiEESC_Lm5ESD_iEENS6_INS7_ISA_SB_Lm4ESD_iEESH_SB_Lm5ESD_iEESI_PSC_iiiiiiiii
; %bb.0:
	s_load_dwordx4 s[28:31], s[4:5], 0xc
	s_load_dwordx4 s[36:39], s[4:5], 0x38
	s_load_dwordx2 s[34:35], s[4:5], 0x48
	s_load_dword s2, s[4:5], 0xcc
	v_mov_b32_e32 v1, 0
	s_waitcnt lgkmcnt(0)
	s_abs_i32 s3, s28
	v_cvt_f32_u32_e32 v2, s3
	s_add_u32 s0, s4, 0xc0
	v_mov_b32_e32 v3, s6
	s_mul_i32 s52, s35, s36
	v_rcp_iflag_f32_e32 v2, v2
	s_addc_u32 s1, s5, 0
	s_and_b32 s2, s2, 0xffff
	s_ashr_i32 s53, s52, 31
	v_mul_f32_e32 v2, 0x4f7ffffe, v2
	v_cvt_u32_f32_e32 v4, v2
	v_mad_u64_u32 v[2:3], s[8:9], s2, v3, v[0:1]
	v_cmp_gt_i64_e32 vcc, s[52:53], v[2:3]
	v_readfirstlane_b32 s7, v4
	s_and_saveexec_b64 s[8:9], vcc
	s_cbranch_execz .LBB0_59
; %bb.1:
	s_sub_i32 s9, 0, s3
	s_mul_i32 s9, s9, s7
	s_mul_hi_u32 s9, s7, s9
	s_ashr_i32 s8, s28, 31
	s_abs_i32 s28, s37
	s_add_i32 s7, s7, s9
	s_ashr_i32 s33, s37, 31
	s_mul_hi_u32 s7, s28, s7
	s_mul_hi_u32 s74, s2, s6
	s_mul_i32 s75, s2, s6
	s_xor_b32 s6, s33, s8
	s_mul_i32 s8, s7, s3
	s_sub_i32 s8, s28, s8
	s_add_i32 s9, s7, 1
	s_sub_i32 s10, s8, s3
	s_cmp_ge_u32 s8, s3
	s_cselect_b32 s7, s9, s7
	s_cselect_b32 s8, s10, s8
	s_add_i32 s9, s7, 1
	s_cmp_ge_u32 s8, s3
	s_cselect_b32 s3, s9, s7
	s_xor_b32 s3, s3, s6
	s_load_dwordx4 s[40:43], s[4:5], 0x98
	s_load_dwordx2 s[54:55], s[4:5], 0xa8
	s_sub_i32 s6, s3, s6
	s_load_dword s3, s[0:1], 0x0
	s_load_dwordx2 s[56:57], s[4:5], 0x90
	s_load_dword s76, s[4:5], 0x7c
	s_load_dwordx2 s[58:59], s[4:5], 0x0
	s_load_dwordx4 s[44:47], s[4:5], 0x1c
	s_load_dword s77, s[4:5], 0x2c
	s_load_dwordx2 s[60:61], s[4:5], 0x30
	s_add_i32 s0, s30, -3
	s_mul_i32 s0, s31, s0
	s_ashr_i32 s1, s0, 31
	s_waitcnt lgkmcnt(0)
	s_cmp_lg_u64 s[56:57], 0
	s_cselect_b64 s[62:63], -1, 0
	s_abs_i32 s78, s34
	v_cvt_f32_u32_e32 v2, s78
	s_abs_i32 s80, s39
	v_cvt_f32_u32_e32 v3, s80
	s_load_dwordx2 s[66:67], s[4:5], 0x60
	s_load_dwordx4 s[48:51], s[4:5], 0x50
	v_rcp_iflag_f32_e32 v2, v2
	s_sub_i32 s4, 0, s78
	v_rcp_iflag_f32_e32 v3, v3
	s_abs_i32 s82, s38
	v_mul_f32_e32 v2, 0x4f7ffffe, v2
	v_cvt_u32_f32_e32 v2, v2
	s_abs_i32 s85, s6
	v_cvt_f32_u32_e32 v5, s85
	s_mul_i32 s79, s3, s2
	v_mul_lo_u32 v4, s4, v2
	v_mul_hi_u32 v4, v2, v4
	v_add_u32_e32 v10, v2, v4
	v_mul_f32_e32 v2, 0x4f7ffffe, v3
	v_cvt_f32_u32_e32 v3, s82
	v_cvt_u32_f32_e32 v2, v2
	s_sub_i32 s4, 0, s80
	s_ashr_i32 s3, s31, 31
	v_rcp_iflag_f32_e32 v3, v3
	v_mul_lo_u32 v4, s4, v2
	v_mul_hi_u32 v4, v2, v4
	v_add_u32_e32 v11, v2, v4
	v_mul_f32_e32 v2, 0x4f7ffffe, v3
	v_cvt_u32_f32_e32 v2, v2
	v_cvt_f32_u32_e32 v3, s28
	s_sub_i32 s4, 0, s82
	s_mov_b32 s2, s31
	v_mul_lo_u32 v4, s4, v2
	v_rcp_iflag_f32_e32 v3, v3
	v_mul_hi_u32 v4, v2, v4
	v_add_u32_e32 v12, v2, v4
	v_rcp_iflag_f32_e32 v2, v5
	v_mul_f32_e32 v3, 0x4f7ffffe, v3
	v_cvt_u32_f32_e32 v3, v3
	s_sub_i32 s4, 0, s28
	v_mul_f32_e32 v2, 0x4f7ffffe, v2
	v_cvt_u32_f32_e32 v2, v2
	v_mul_lo_u32 v4, s4, v3
	v_mul_hi_u32 v4, v3, v4
	s_sub_i32 s4, 0, s85
	v_add_u32_e32 v13, v3, v4
	v_mul_lo_u32 v3, s4, v2
	v_mul_hi_u32 v3, v2, v3
	s_mov_b32 s36, 0
	s_mov_b64 s[64:65], 0
	s_ashr_i32 s81, s34, 31
	s_ashr_i32 s83, s39, 31
	s_ashr_i32 s84, s38, 31
	s_ashr_i32 s86, s6, 31
	v_add_u32_e32 v14, v2, v3
	s_waitcnt lgkmcnt(0)
	v_mov_b32_e32 v15, s67
	v_mov_b32_e32 v16, s59
	s_lshl_b64 s[68:69], s[2:3], 3
	s_lshl_b64 s[70:71], s[0:1], 3
	s_branch .LBB0_3
.LBB0_2:                                ;   in Loop: Header=BB0_3 Depth=1
	v_mul_lo_u32 v6, v20, s35
	v_ashrrev_i32_e32 v7, 31, v6
	v_lshlrev_b64 v[6:7], 3, v[6:7]
	v_mov_b32_e32 v3, s61
	v_add_co_u32_e32 v6, vcc, s60, v6
	v_mul_lo_u32 v2, s48, v2
	v_addc_co_u32_e32 v7, vcc, v3, v7, vcc
	v_ashrrev_i32_e32 v3, 31, v2
	v_lshlrev_b64 v[2:3], 3, v[2:3]
	v_add_co_u32_e32 v6, vcc, v6, v2
	v_mul_lo_u32 v2, s49, v19
	v_addc_co_u32_e32 v7, vcc, v7, v3, vcc
	v_ashrrev_i32_e32 v3, 31, v2
	v_lshlrev_b64 v[2:3], 3, v[2:3]
	;; [unrolled: 5-line block ×4, first 2 shown]
	v_add_co_u32_e32 v2, vcc, v6, v2
	v_addc_co_u32_e32 v3, vcc, v7, v3, vcc
	v_mov_b32_e32 v6, s36
	v_add_co_u32_e32 v0, vcc, s79, v0
	v_addc_co_u32_e32 v1, vcc, v1, v6, vcc
	v_mov_b32_e32 v7, s74
	v_add_co_u32_e32 v6, vcc, s75, v0
	v_addc_co_u32_e32 v7, vcc, v7, v1, vcc
	v_cmp_le_i64_e32 vcc, s[52:53], v[6:7]
	s_or_b64 s[64:65], vcc, s[64:65]
	global_store_dwordx2 v[2:3], v[4:5], off
	s_andn2_b64 exec, exec, s[64:65]
	s_cbranch_execz .LBB0_59
.LBB0_3:                                ; =>This Inner Loop Header: Depth=1
	v_add_u32_e32 v2, s75, v0
	v_sub_u32_e32 v4, 0, v2
	v_max_i32_e32 v4, v2, v4
	v_mul_hi_u32 v5, v4, v10
	v_mul_lo_u32 v6, v5, s78
	v_sub_u32_e32 v4, v4, v6
	v_add_u32_e32 v6, 1, v5
	v_cmp_le_u32_e32 vcc, s78, v4
	v_cndmask_b32_e32 v5, v5, v6, vcc
	v_subrev_u32_e32 v6, s78, v4
	v_cndmask_b32_e32 v4, v4, v6, vcc
	v_ashrrev_i32_e32 v3, 31, v2
	v_add_u32_e32 v6, 1, v5
	v_cmp_le_u32_e32 vcc, s78, v4
	v_xor_b32_e32 v3, s81, v3
	v_cndmask_b32_e32 v4, v5, v6, vcc
	v_xor_b32_e32 v4, v4, v3
	v_sub_u32_e32 v3, v4, v3
	v_mul_lo_u32 v4, v3, s34
	v_sub_u32_e32 v17, v2, v4
	v_sub_u32_e32 v4, 0, v3
	v_max_i32_e32 v4, v3, v4
	v_mul_hi_u32 v5, v4, v11
	v_mul_lo_u32 v6, v5, s80
	v_sub_u32_e32 v4, v4, v6
	v_add_u32_e32 v6, 1, v5
	v_cmp_le_u32_e32 vcc, s80, v4
	v_cndmask_b32_e32 v5, v5, v6, vcc
	v_subrev_u32_e32 v6, s80, v4
	v_cndmask_b32_e32 v4, v4, v6, vcc
	v_ashrrev_i32_e32 v2, 31, v3
	v_add_u32_e32 v6, 1, v5
	v_cmp_le_u32_e32 vcc, s80, v4
	v_xor_b32_e32 v2, s83, v2
	v_cndmask_b32_e32 v4, v5, v6, vcc
	v_xor_b32_e32 v4, v4, v2
	v_sub_u32_e32 v2, v4, v2
	v_mul_lo_u32 v4, v2, s39
	v_sub_u32_e32 v18, v3, v4
	;; [unrolled: 19-line block ×4, first 2 shown]
	v_sub_u32_e32 v5, 0, v2
	v_max_i32_e32 v5, v2, v5
	v_mul_hi_u32 v6, v5, v14
	v_mul_lo_u32 v7, v6, s85
	v_sub_u32_e32 v5, v5, v7
	v_add_u32_e32 v7, 1, v6
	v_cmp_le_u32_e32 vcc, s85, v5
	v_cndmask_b32_e32 v6, v6, v7, vcc
	v_subrev_u32_e32 v7, s85, v5
	v_cndmask_b32_e32 v5, v5, v7, vcc
	v_ashrrev_i32_e32 v3, 31, v2
	v_add_u32_e32 v7, 1, v6
	v_cmp_le_u32_e32 vcc, s85, v5
	v_xor_b32_e32 v4, s86, v3
	v_cndmask_b32_e32 v5, v6, v7, vcc
	v_xor_b32_e32 v5, v5, v4
	v_sub_u32_e32 v8, v5, v4
	v_mul_lo_u32 v4, v17, s42
	v_subrev_u32_e32 v23, s55, v4
	v_mul_lo_u32 v4, v18, s41
	v_subrev_u32_e32 v22, s54, v4
	;; [unrolled: 2-line block ×3, first 2 shown]
	v_mul_lo_u32 v4, s76, v2
	v_ashrrev_i32_e32 v5, 31, v4
	v_lshlrev_b64 v[4:5], 3, v[4:5]
	v_add_co_u32_e32 v6, vcc, s66, v4
	v_mul_lo_u32 v4, s44, v20
	v_addc_co_u32_e32 v7, vcc, v15, v5, vcc
	v_ashrrev_i32_e32 v5, 31, v4
	v_lshlrev_b64 v[4:5], 3, v[4:5]
	v_add_co_u32_e32 v9, vcc, s58, v4
	v_mul_lo_u32 v4, s45, v8
	v_addc_co_u32_e32 v24, vcc, v16, v5, vcc
	;; [unrolled: 5-line block ×5, first 2 shown]
	v_ashrrev_i32_e32 v5, 31, v4
	v_lshlrev_b64 v[4:5], 3, v[4:5]
	v_add_co_u32_e32 v8, vcc, v8, v4
	v_addc_co_u32_e32 v9, vcc, v9, v5, vcc
	v_cmp_lt_i32_e64 s[14:15], -1, v21
	v_cmp_lt_i32_e64 s[16:17], -1, v22
	s_and_b64 s[8:9], s[14:15], s[16:17]
	v_cmp_lt_i32_e32 vcc, -1, v23
	v_cmp_gt_i32_e64 s[22:23], s29, v21
	s_and_b64 s[0:1], s[8:9], vcc
	v_cmp_gt_i32_e64 s[10:11], s30, v22
	s_and_b64 s[0:1], s[0:1], s[22:23]
	s_and_b64 s[2:3], s[0:1], s[10:11]
	v_cmp_gt_i32_e64 s[0:1], s31, v23
	s_and_b64 s[4:5], s[2:3], s[0:1]
	v_pk_mov_b32 v[4:5], 0, 0
	s_and_saveexec_b64 s[2:3], s[4:5]
	s_cbranch_execz .LBB0_5
; %bb.4:                                ;   in Loop: Header=BB0_3 Depth=1
	global_load_dwordx2 v[4:5], v[6:7], off
	global_load_dwordx2 v[24:25], v[8:9], off
	s_waitcnt vmcnt(0)
	v_fma_f64 v[4:5], v[4:5], v[24:25], 0
.LBB0_5:                                ;   in Loop: Header=BB0_3 Depth=1
	s_or_b64 exec, exec, s[2:3]
	v_cmp_lt_i32_e64 s[2:3], -2, v23
	s_and_b64 s[4:5], s[8:9], s[2:3]
	v_add_u32_e32 v24, 1, v23
	s_and_b64 s[4:5], s[4:5], s[22:23]
	s_and_b64 s[6:7], s[4:5], s[10:11]
	v_cmp_gt_i32_e64 s[4:5], s31, v24
	s_and_b64 s[12:13], s[6:7], s[4:5]
	s_and_saveexec_b64 s[6:7], s[12:13]
	s_cbranch_execz .LBB0_7
; %bb.6:                                ;   in Loop: Header=BB0_3 Depth=1
	global_load_dwordx2 v[24:25], v[6:7], off offset:8
	global_load_dwordx2 v[26:27], v[8:9], off offset:8
	s_waitcnt vmcnt(0)
	v_fmac_f64_e32 v[4:5], v[24:25], v[26:27]
.LBB0_7:                                ;   in Loop: Header=BB0_3 Depth=1
	s_or_b64 exec, exec, s[6:7]
	v_cmp_lt_i32_e64 s[6:7], -3, v23
	s_and_b64 s[8:9], s[8:9], s[6:7]
	v_add_u32_e32 v24, 2, v23
	s_and_b64 s[8:9], s[8:9], s[22:23]
	s_and_b64 s[12:13], s[8:9], s[10:11]
	v_cmp_gt_i32_e64 s[8:9], s31, v24
	s_and_b64 s[18:19], s[12:13], s[8:9]
	s_and_saveexec_b64 s[12:13], s[18:19]
	s_cbranch_execz .LBB0_9
; %bb.8:                                ;   in Loop: Header=BB0_3 Depth=1
	global_load_dwordx2 v[24:25], v[6:7], off offset:16
	global_load_dwordx2 v[26:27], v[8:9], off offset:16
	s_waitcnt vmcnt(0)
	v_fmac_f64_e32 v[4:5], v[24:25], v[26:27]
.LBB0_9:                                ;   in Loop: Header=BB0_3 Depth=1
	s_or_b64 exec, exec, s[12:13]
	v_cmp_lt_i32_e64 s[18:19], -2, v22
	v_mov_b32_e32 v23, s69
	v_add_co_u32_e64 v8, s[12:13], s68, v8
	s_and_b64 s[20:21], s[14:15], s[18:19]
	v_addc_co_u32_e64 v9, s[12:13], v9, v23, s[12:13]
	v_add_u32_e32 v23, 1, v22
	s_and_b64 s[24:25], s[20:21], vcc
	v_cmp_gt_i32_e64 s[12:13], s30, v23
	s_and_b64 s[24:25], s[24:25], s[22:23]
	s_and_b64 s[24:25], s[24:25], s[12:13]
	;; [unrolled: 1-line block ×3, first 2 shown]
	s_and_saveexec_b64 s[24:25], s[26:27]
	s_cbranch_execz .LBB0_11
; %bb.10:                               ;   in Loop: Header=BB0_3 Depth=1
	global_load_dwordx2 v[24:25], v[6:7], off offset:24
	global_load_dwordx2 v[26:27], v[8:9], off
	s_waitcnt vmcnt(0)
	v_fmac_f64_e32 v[4:5], v[24:25], v[26:27]
.LBB0_11:                               ;   in Loop: Header=BB0_3 Depth=1
	s_or_b64 exec, exec, s[24:25]
	s_and_b64 s[24:25], s[20:21], s[2:3]
	s_and_b64 s[24:25], s[24:25], s[22:23]
	;; [unrolled: 1-line block ×4, first 2 shown]
	s_and_saveexec_b64 s[24:25], s[26:27]
	s_cbranch_execz .LBB0_13
; %bb.12:                               ;   in Loop: Header=BB0_3 Depth=1
	global_load_dwordx2 v[24:25], v[6:7], off offset:32
	global_load_dwordx2 v[26:27], v[8:9], off offset:8
	s_waitcnt vmcnt(0)
	v_fmac_f64_e32 v[4:5], v[24:25], v[26:27]
.LBB0_13:                               ;   in Loop: Header=BB0_3 Depth=1
	s_or_b64 exec, exec, s[24:25]
	s_and_b64 s[20:21], s[20:21], s[6:7]
	s_and_b64 s[20:21], s[20:21], s[22:23]
	s_and_b64 s[20:21], s[20:21], s[12:13]
	s_and_b64 s[24:25], s[20:21], s[8:9]
	s_and_saveexec_b64 s[20:21], s[24:25]
	s_cbranch_execz .LBB0_15
; %bb.14:                               ;   in Loop: Header=BB0_3 Depth=1
	global_load_dwordx2 v[24:25], v[6:7], off offset:40
	global_load_dwordx2 v[26:27], v[8:9], off offset:16
	s_waitcnt vmcnt(0)
	v_fmac_f64_e32 v[4:5], v[24:25], v[26:27]
.LBB0_15:                               ;   in Loop: Header=BB0_3 Depth=1
	s_or_b64 exec, exec, s[20:21]
	v_mov_b32_e32 v23, s69
	v_add_co_u32_e64 v8, s[20:21], s68, v8
	v_addc_co_u32_e64 v9, s[20:21], v9, v23, s[20:21]
	v_cmp_lt_i32_e64 s[20:21], -3, v22
	s_and_b64 s[24:25], s[14:15], s[20:21]
	v_add_u32_e32 v23, 2, v22
	s_and_b64 s[26:27], s[24:25], vcc
	v_cmp_gt_i32_e64 s[14:15], s30, v23
	s_and_b64 s[26:27], s[26:27], s[22:23]
	s_and_b64 s[26:27], s[26:27], s[14:15]
	;; [unrolled: 1-line block ×3, first 2 shown]
	s_and_saveexec_b64 s[26:27], s[72:73]
	s_cbranch_execz .LBB0_17
; %bb.16:                               ;   in Loop: Header=BB0_3 Depth=1
	global_load_dwordx2 v[22:23], v[6:7], off offset:48
	global_load_dwordx2 v[24:25], v[8:9], off
	s_waitcnt vmcnt(0)
	v_fmac_f64_e32 v[4:5], v[22:23], v[24:25]
.LBB0_17:                               ;   in Loop: Header=BB0_3 Depth=1
	s_or_b64 exec, exec, s[26:27]
	s_and_b64 s[26:27], s[24:25], s[2:3]
	s_and_b64 s[26:27], s[26:27], s[22:23]
	;; [unrolled: 1-line block ×4, first 2 shown]
	s_and_saveexec_b64 s[26:27], s[72:73]
	s_cbranch_execz .LBB0_19
; %bb.18:                               ;   in Loop: Header=BB0_3 Depth=1
	global_load_dwordx2 v[22:23], v[6:7], off offset:56
	global_load_dwordx2 v[24:25], v[8:9], off offset:8
	s_waitcnt vmcnt(0)
	v_fmac_f64_e32 v[4:5], v[22:23], v[24:25]
.LBB0_19:                               ;   in Loop: Header=BB0_3 Depth=1
	s_or_b64 exec, exec, s[26:27]
	s_and_b64 s[24:25], s[24:25], s[6:7]
	s_and_b64 s[22:23], s[24:25], s[22:23]
	;; [unrolled: 1-line block ×4, first 2 shown]
	s_and_saveexec_b64 s[22:23], s[24:25]
	s_cbranch_execz .LBB0_21
; %bb.20:                               ;   in Loop: Header=BB0_3 Depth=1
	global_load_dwordx2 v[22:23], v[6:7], off offset:64
	global_load_dwordx2 v[24:25], v[8:9], off offset:16
	s_waitcnt vmcnt(0)
	v_fmac_f64_e32 v[4:5], v[22:23], v[24:25]
.LBB0_21:                               ;   in Loop: Header=BB0_3 Depth=1
	s_or_b64 exec, exec, s[22:23]
	s_add_u32 s22, s70, s68
	s_addc_u32 s23, s71, s69
	v_mov_b32_e32 v22, s23
	v_add_co_u32_e64 v8, s[22:23], s22, v8
	v_cmp_lt_i32_e64 s[24:25], -2, v21
	v_addc_co_u32_e64 v9, s[22:23], v22, v9, s[22:23]
	v_add_u32_e32 v22, 1, v21
	s_and_b64 s[26:27], s[24:25], s[16:17]
	v_cmp_gt_i32_e64 s[22:23], s29, v22
	s_and_b64 s[72:73], s[26:27], vcc
	s_and_b64 s[72:73], s[72:73], s[22:23]
	s_and_b64 s[72:73], s[72:73], s[10:11]
	;; [unrolled: 1-line block ×3, first 2 shown]
	s_and_saveexec_b64 s[72:73], s[88:89]
	s_cbranch_execz .LBB0_23
; %bb.22:                               ;   in Loop: Header=BB0_3 Depth=1
	global_load_dwordx2 v[22:23], v[6:7], off offset:72
	global_load_dwordx2 v[24:25], v[8:9], off
	s_waitcnt vmcnt(0)
	v_fmac_f64_e32 v[4:5], v[22:23], v[24:25]
.LBB0_23:                               ;   in Loop: Header=BB0_3 Depth=1
	s_or_b64 exec, exec, s[72:73]
	s_and_b64 s[72:73], s[26:27], s[2:3]
	s_and_b64 s[72:73], s[72:73], s[22:23]
	;; [unrolled: 1-line block ×4, first 2 shown]
	s_and_saveexec_b64 s[72:73], s[88:89]
	s_cbranch_execz .LBB0_25
; %bb.24:                               ;   in Loop: Header=BB0_3 Depth=1
	global_load_dwordx2 v[22:23], v[6:7], off offset:80
	global_load_dwordx2 v[24:25], v[8:9], off offset:8
	s_waitcnt vmcnt(0)
	v_fmac_f64_e32 v[4:5], v[22:23], v[24:25]
.LBB0_25:                               ;   in Loop: Header=BB0_3 Depth=1
	s_or_b64 exec, exec, s[72:73]
	s_and_b64 s[26:27], s[26:27], s[6:7]
	s_and_b64 s[26:27], s[26:27], s[22:23]
	;; [unrolled: 1-line block ×4, first 2 shown]
	s_and_saveexec_b64 s[26:27], s[72:73]
	s_cbranch_execz .LBB0_27
; %bb.26:                               ;   in Loop: Header=BB0_3 Depth=1
	global_load_dwordx2 v[22:23], v[6:7], off offset:88
	global_load_dwordx2 v[24:25], v[8:9], off offset:16
	s_waitcnt vmcnt(0)
	v_fmac_f64_e32 v[4:5], v[22:23], v[24:25]
.LBB0_27:                               ;   in Loop: Header=BB0_3 Depth=1
	s_or_b64 exec, exec, s[26:27]
	v_mov_b32_e32 v22, s69
	v_add_co_u32_e64 v8, s[26:27], s68, v8
	v_addc_co_u32_e64 v9, s[26:27], v9, v22, s[26:27]
	s_and_b64 s[26:27], s[24:25], s[18:19]
	s_and_b64 s[72:73], s[26:27], vcc
	s_and_b64 s[72:73], s[72:73], s[22:23]
	s_and_b64 s[72:73], s[72:73], s[12:13]
	;; [unrolled: 1-line block ×3, first 2 shown]
	s_and_saveexec_b64 s[72:73], s[88:89]
	s_cbranch_execz .LBB0_29
; %bb.28:                               ;   in Loop: Header=BB0_3 Depth=1
	global_load_dwordx2 v[22:23], v[6:7], off offset:96
	global_load_dwordx2 v[24:25], v[8:9], off
	s_waitcnt vmcnt(0)
	v_fmac_f64_e32 v[4:5], v[22:23], v[24:25]
.LBB0_29:                               ;   in Loop: Header=BB0_3 Depth=1
	s_or_b64 exec, exec, s[72:73]
	s_and_b64 s[72:73], s[26:27], s[2:3]
	s_and_b64 s[72:73], s[72:73], s[22:23]
	;; [unrolled: 1-line block ×4, first 2 shown]
	s_and_saveexec_b64 s[72:73], s[88:89]
	s_cbranch_execz .LBB0_31
; %bb.30:                               ;   in Loop: Header=BB0_3 Depth=1
	global_load_dwordx2 v[22:23], v[6:7], off offset:104
	global_load_dwordx2 v[24:25], v[8:9], off offset:8
	s_waitcnt vmcnt(0)
	v_fmac_f64_e32 v[4:5], v[22:23], v[24:25]
.LBB0_31:                               ;   in Loop: Header=BB0_3 Depth=1
	s_or_b64 exec, exec, s[72:73]
	s_and_b64 s[26:27], s[26:27], s[6:7]
	s_and_b64 s[26:27], s[26:27], s[22:23]
	;; [unrolled: 1-line block ×4, first 2 shown]
	s_and_saveexec_b64 s[26:27], s[72:73]
	s_cbranch_execz .LBB0_33
; %bb.32:                               ;   in Loop: Header=BB0_3 Depth=1
	global_load_dwordx2 v[22:23], v[6:7], off offset:112
	global_load_dwordx2 v[24:25], v[8:9], off offset:16
	s_waitcnt vmcnt(0)
	v_fmac_f64_e32 v[4:5], v[22:23], v[24:25]
.LBB0_33:                               ;   in Loop: Header=BB0_3 Depth=1
	s_or_b64 exec, exec, s[26:27]
	v_mov_b32_e32 v22, s69
	v_add_co_u32_e64 v8, s[26:27], s68, v8
	v_addc_co_u32_e64 v9, s[26:27], v9, v22, s[26:27]
	s_and_b64 s[24:25], s[24:25], s[20:21]
	s_and_b64 s[26:27], s[24:25], vcc
	s_and_b64 s[26:27], s[26:27], s[22:23]
	s_and_b64 s[26:27], s[26:27], s[14:15]
	s_and_b64 s[72:73], s[26:27], s[0:1]
	s_and_saveexec_b64 s[26:27], s[72:73]
	s_cbranch_execz .LBB0_35
; %bb.34:                               ;   in Loop: Header=BB0_3 Depth=1
	global_load_dwordx2 v[22:23], v[6:7], off offset:120
	global_load_dwordx2 v[24:25], v[8:9], off
	s_waitcnt vmcnt(0)
	v_fmac_f64_e32 v[4:5], v[22:23], v[24:25]
.LBB0_35:                               ;   in Loop: Header=BB0_3 Depth=1
	s_or_b64 exec, exec, s[26:27]
	s_and_b64 s[26:27], s[24:25], s[2:3]
	s_and_b64 s[26:27], s[26:27], s[22:23]
	;; [unrolled: 1-line block ×4, first 2 shown]
	s_and_saveexec_b64 s[26:27], s[72:73]
	s_cbranch_execz .LBB0_37
; %bb.36:                               ;   in Loop: Header=BB0_3 Depth=1
	global_load_dwordx2 v[22:23], v[6:7], off offset:128
	global_load_dwordx2 v[24:25], v[8:9], off offset:8
	s_waitcnt vmcnt(0)
	v_fmac_f64_e32 v[4:5], v[22:23], v[24:25]
.LBB0_37:                               ;   in Loop: Header=BB0_3 Depth=1
	s_or_b64 exec, exec, s[26:27]
	s_and_b64 s[24:25], s[24:25], s[6:7]
	s_and_b64 s[22:23], s[24:25], s[22:23]
	s_and_b64 s[22:23], s[22:23], s[14:15]
	s_and_b64 s[24:25], s[22:23], s[8:9]
	s_and_saveexec_b64 s[22:23], s[24:25]
	s_cbranch_execz .LBB0_39
; %bb.38:                               ;   in Loop: Header=BB0_3 Depth=1
	global_load_dwordx2 v[22:23], v[6:7], off offset:136
	global_load_dwordx2 v[24:25], v[8:9], off offset:16
	s_waitcnt vmcnt(0)
	v_fmac_f64_e32 v[4:5], v[22:23], v[24:25]
.LBB0_39:                               ;   in Loop: Header=BB0_3 Depth=1
	s_or_b64 exec, exec, s[22:23]
	s_add_u32 s22, s70, s68
	s_addc_u32 s23, s71, s69
	v_mov_b32_e32 v22, s23
	v_add_co_u32_e64 v8, s[22:23], s22, v8
	v_cmp_lt_i32_e64 s[24:25], -3, v21
	v_addc_co_u32_e64 v9, s[22:23], v22, v9, s[22:23]
	v_add_u32_e32 v22, 2, v21
	s_and_b64 s[16:17], s[24:25], s[16:17]
	v_cmp_gt_i32_e64 s[22:23], s29, v22
	s_and_b64 s[26:27], s[16:17], vcc
	s_and_b64 s[26:27], s[26:27], s[22:23]
	s_and_b64 s[26:27], s[26:27], s[10:11]
	;; [unrolled: 1-line block ×3, first 2 shown]
	s_and_saveexec_b64 s[26:27], s[72:73]
	s_cbranch_execz .LBB0_41
; %bb.40:                               ;   in Loop: Header=BB0_3 Depth=1
	global_load_dwordx2 v[22:23], v[6:7], off offset:144
	global_load_dwordx2 v[24:25], v[8:9], off
	s_waitcnt vmcnt(0)
	v_fmac_f64_e32 v[4:5], v[22:23], v[24:25]
.LBB0_41:                               ;   in Loop: Header=BB0_3 Depth=1
	s_or_b64 exec, exec, s[26:27]
	s_and_b64 s[26:27], s[16:17], s[2:3]
	s_and_b64 s[26:27], s[26:27], s[22:23]
	;; [unrolled: 1-line block ×4, first 2 shown]
	s_and_saveexec_b64 s[26:27], s[72:73]
	s_cbranch_execz .LBB0_43
; %bb.42:                               ;   in Loop: Header=BB0_3 Depth=1
	global_load_dwordx2 v[22:23], v[6:7], off offset:152
	global_load_dwordx2 v[24:25], v[8:9], off offset:8
	s_waitcnt vmcnt(0)
	v_fmac_f64_e32 v[4:5], v[22:23], v[24:25]
.LBB0_43:                               ;   in Loop: Header=BB0_3 Depth=1
	s_or_b64 exec, exec, s[26:27]
	s_and_b64 s[16:17], s[16:17], s[6:7]
	s_and_b64 s[16:17], s[16:17], s[22:23]
	s_and_b64 s[10:11], s[16:17], s[10:11]
	s_and_b64 s[16:17], s[10:11], s[8:9]
	s_and_saveexec_b64 s[10:11], s[16:17]
	s_cbranch_execz .LBB0_45
; %bb.44:                               ;   in Loop: Header=BB0_3 Depth=1
	global_load_dwordx2 v[22:23], v[6:7], off offset:160
	global_load_dwordx2 v[24:25], v[8:9], off offset:16
	s_waitcnt vmcnt(0)
	v_fmac_f64_e32 v[4:5], v[22:23], v[24:25]
.LBB0_45:                               ;   in Loop: Header=BB0_3 Depth=1
	s_or_b64 exec, exec, s[10:11]
	v_mov_b32_e32 v21, s69
	v_add_co_u32_e64 v8, s[10:11], s68, v8
	v_addc_co_u32_e64 v9, s[10:11], v9, v21, s[10:11]
	s_and_b64 s[10:11], s[24:25], s[18:19]
	s_and_b64 s[16:17], s[10:11], vcc
	s_and_b64 s[16:17], s[16:17], s[22:23]
	s_and_b64 s[16:17], s[16:17], s[12:13]
	;; [unrolled: 1-line block ×3, first 2 shown]
	s_and_saveexec_b64 s[16:17], s[18:19]
	s_cbranch_execz .LBB0_47
; %bb.46:                               ;   in Loop: Header=BB0_3 Depth=1
	global_load_dwordx2 v[22:23], v[6:7], off offset:168
	global_load_dwordx2 v[24:25], v[8:9], off
	s_waitcnt vmcnt(0)
	v_fmac_f64_e32 v[4:5], v[22:23], v[24:25]
.LBB0_47:                               ;   in Loop: Header=BB0_3 Depth=1
	s_or_b64 exec, exec, s[16:17]
	s_and_b64 s[16:17], s[10:11], s[2:3]
	s_and_b64 s[16:17], s[16:17], s[22:23]
	;; [unrolled: 1-line block ×4, first 2 shown]
	s_and_saveexec_b64 s[16:17], s[18:19]
	s_cbranch_execz .LBB0_49
; %bb.48:                               ;   in Loop: Header=BB0_3 Depth=1
	global_load_dwordx2 v[22:23], v[6:7], off offset:176
	global_load_dwordx2 v[24:25], v[8:9], off offset:8
	s_waitcnt vmcnt(0)
	v_fmac_f64_e32 v[4:5], v[22:23], v[24:25]
.LBB0_49:                               ;   in Loop: Header=BB0_3 Depth=1
	s_or_b64 exec, exec, s[16:17]
	s_and_b64 s[10:11], s[10:11], s[6:7]
	s_and_b64 s[10:11], s[10:11], s[22:23]
	;; [unrolled: 1-line block ×4, first 2 shown]
	s_and_saveexec_b64 s[10:11], s[12:13]
	s_cbranch_execz .LBB0_51
; %bb.50:                               ;   in Loop: Header=BB0_3 Depth=1
	global_load_dwordx2 v[22:23], v[6:7], off offset:184
	global_load_dwordx2 v[24:25], v[8:9], off offset:16
	s_waitcnt vmcnt(0)
	v_fmac_f64_e32 v[4:5], v[22:23], v[24:25]
.LBB0_51:                               ;   in Loop: Header=BB0_3 Depth=1
	s_or_b64 exec, exec, s[10:11]
	v_mov_b32_e32 v21, s69
	v_add_co_u32_e64 v8, s[10:11], s68, v8
	v_addc_co_u32_e64 v9, s[10:11], v9, v21, s[10:11]
	s_and_b64 s[10:11], s[24:25], s[20:21]
	s_and_b64 s[12:13], s[10:11], vcc
	s_and_b64 s[12:13], s[12:13], s[22:23]
	s_and_b64 s[12:13], s[12:13], s[14:15]
	;; [unrolled: 1-line block ×3, first 2 shown]
	s_and_saveexec_b64 s[0:1], s[12:13]
	s_cbranch_execz .LBB0_53
; %bb.52:                               ;   in Loop: Header=BB0_3 Depth=1
	global_load_dwordx2 v[22:23], v[6:7], off offset:192
	global_load_dwordx2 v[24:25], v[8:9], off
	s_waitcnt vmcnt(0)
	v_fmac_f64_e32 v[4:5], v[22:23], v[24:25]
.LBB0_53:                               ;   in Loop: Header=BB0_3 Depth=1
	s_or_b64 exec, exec, s[0:1]
	s_and_b64 s[0:1], s[10:11], s[2:3]
	s_and_b64 s[0:1], s[0:1], s[22:23]
	;; [unrolled: 1-line block ×4, first 2 shown]
	s_and_saveexec_b64 s[0:1], s[2:3]
	s_cbranch_execz .LBB0_55
; %bb.54:                               ;   in Loop: Header=BB0_3 Depth=1
	global_load_dwordx2 v[22:23], v[6:7], off offset:200
	global_load_dwordx2 v[24:25], v[8:9], off offset:8
	s_waitcnt vmcnt(0)
	v_fmac_f64_e32 v[4:5], v[22:23], v[24:25]
.LBB0_55:                               ;   in Loop: Header=BB0_3 Depth=1
	s_or_b64 exec, exec, s[0:1]
	s_and_b64 s[0:1], s[10:11], s[6:7]
	s_and_b64 s[0:1], s[0:1], s[22:23]
	;; [unrolled: 1-line block ×4, first 2 shown]
	s_and_saveexec_b64 s[0:1], s[2:3]
	s_cbranch_execz .LBB0_57
; %bb.56:                               ;   in Loop: Header=BB0_3 Depth=1
	global_load_dwordx2 v[6:7], v[6:7], off offset:208
	s_nop 0
	global_load_dwordx2 v[8:9], v[8:9], off offset:16
	s_waitcnt vmcnt(0)
	v_fmac_f64_e32 v[4:5], v[6:7], v[8:9]
.LBB0_57:                               ;   in Loop: Header=BB0_3 Depth=1
	s_or_b64 exec, exec, s[0:1]
	s_andn2_b64 vcc, exec, s[62:63]
	s_cbranch_vccnz .LBB0_2
; %bb.58:                               ;   in Loop: Header=BB0_3 Depth=1
	v_lshlrev_b64 v[6:7], 3, v[2:3]
	v_mov_b32_e32 v3, s57
	v_add_co_u32_e32 v6, vcc, s56, v6
	v_addc_co_u32_e32 v7, vcc, v3, v7, vcc
	global_load_dwordx2 v[6:7], v[6:7], off
	s_waitcnt vmcnt(0)
	v_add_f64 v[4:5], v[4:5], v[6:7]
	s_branch .LBB0_2
.LBB0_59:
	s_endpgm
	.section	.rodata,"a",@progbits
	.p2align	6, 0x0
	.amdhsa_kernel _ZN2at6native12_GLOBAL__N_128conv_depthwise3d_cuda_kernelIddLi3ELi3ELi3ELi1ELi1ELi1EEEvN5torch10headeronly6detail27GenericPackedTensorAccessorINS5_14TensorAccessorIN3c108ArrayRefIlEEKT_Lm4ENS4_16DefaultPtrTraitsEiEENS_6detail16IndexBoundsCheckILm5EiEESC_Lm5ESD_iEENS6_INS7_ISA_SB_Lm4ESD_iEESH_SB_Lm5ESD_iEESI_PSC_iiiiiiiii
		.amdhsa_group_segment_fixed_size 0
		.amdhsa_private_segment_fixed_size 0
		.amdhsa_kernarg_size 448
		.amdhsa_user_sgpr_count 6
		.amdhsa_user_sgpr_private_segment_buffer 1
		.amdhsa_user_sgpr_dispatch_ptr 0
		.amdhsa_user_sgpr_queue_ptr 0
		.amdhsa_user_sgpr_kernarg_segment_ptr 1
		.amdhsa_user_sgpr_dispatch_id 0
		.amdhsa_user_sgpr_flat_scratch_init 0
		.amdhsa_user_sgpr_kernarg_preload_length 0
		.amdhsa_user_sgpr_kernarg_preload_offset 0
		.amdhsa_user_sgpr_private_segment_size 0
		.amdhsa_uses_dynamic_stack 0
		.amdhsa_system_sgpr_private_segment_wavefront_offset 0
		.amdhsa_system_sgpr_workgroup_id_x 1
		.amdhsa_system_sgpr_workgroup_id_y 0
		.amdhsa_system_sgpr_workgroup_id_z 0
		.amdhsa_system_sgpr_workgroup_info 0
		.amdhsa_system_vgpr_workitem_id 0
		.amdhsa_next_free_vgpr 28
		.amdhsa_next_free_sgpr 90
		.amdhsa_accum_offset 28
		.amdhsa_reserve_vcc 1
		.amdhsa_reserve_flat_scratch 0
		.amdhsa_float_round_mode_32 0
		.amdhsa_float_round_mode_16_64 0
		.amdhsa_float_denorm_mode_32 3
		.amdhsa_float_denorm_mode_16_64 3
		.amdhsa_dx10_clamp 1
		.amdhsa_ieee_mode 1
		.amdhsa_fp16_overflow 0
		.amdhsa_tg_split 0
		.amdhsa_exception_fp_ieee_invalid_op 0
		.amdhsa_exception_fp_denorm_src 0
		.amdhsa_exception_fp_ieee_div_zero 0
		.amdhsa_exception_fp_ieee_overflow 0
		.amdhsa_exception_fp_ieee_underflow 0
		.amdhsa_exception_fp_ieee_inexact 0
		.amdhsa_exception_int_div_zero 0
	.end_amdhsa_kernel
	.section	.text._ZN2at6native12_GLOBAL__N_128conv_depthwise3d_cuda_kernelIddLi3ELi3ELi3ELi1ELi1ELi1EEEvN5torch10headeronly6detail27GenericPackedTensorAccessorINS5_14TensorAccessorIN3c108ArrayRefIlEEKT_Lm4ENS4_16DefaultPtrTraitsEiEENS_6detail16IndexBoundsCheckILm5EiEESC_Lm5ESD_iEENS6_INS7_ISA_SB_Lm4ESD_iEESH_SB_Lm5ESD_iEESI_PSC_iiiiiiiii,"axG",@progbits,_ZN2at6native12_GLOBAL__N_128conv_depthwise3d_cuda_kernelIddLi3ELi3ELi3ELi1ELi1ELi1EEEvN5torch10headeronly6detail27GenericPackedTensorAccessorINS5_14TensorAccessorIN3c108ArrayRefIlEEKT_Lm4ENS4_16DefaultPtrTraitsEiEENS_6detail16IndexBoundsCheckILm5EiEESC_Lm5ESD_iEENS6_INS7_ISA_SB_Lm4ESD_iEESH_SB_Lm5ESD_iEESI_PSC_iiiiiiiii,comdat
.Lfunc_end0:
	.size	_ZN2at6native12_GLOBAL__N_128conv_depthwise3d_cuda_kernelIddLi3ELi3ELi3ELi1ELi1ELi1EEEvN5torch10headeronly6detail27GenericPackedTensorAccessorINS5_14TensorAccessorIN3c108ArrayRefIlEEKT_Lm4ENS4_16DefaultPtrTraitsEiEENS_6detail16IndexBoundsCheckILm5EiEESC_Lm5ESD_iEENS6_INS7_ISA_SB_Lm4ESD_iEESH_SB_Lm5ESD_iEESI_PSC_iiiiiiiii, .Lfunc_end0-_ZN2at6native12_GLOBAL__N_128conv_depthwise3d_cuda_kernelIddLi3ELi3ELi3ELi1ELi1ELi1EEEvN5torch10headeronly6detail27GenericPackedTensorAccessorINS5_14TensorAccessorIN3c108ArrayRefIlEEKT_Lm4ENS4_16DefaultPtrTraitsEiEENS_6detail16IndexBoundsCheckILm5EiEESC_Lm5ESD_iEENS6_INS7_ISA_SB_Lm4ESD_iEESH_SB_Lm5ESD_iEESI_PSC_iiiiiiiii
                                        ; -- End function
	.section	.AMDGPU.csdata,"",@progbits
; Kernel info:
; codeLenInByte = 3300
; NumSgprs: 94
; NumVgprs: 28
; NumAgprs: 0
; TotalNumVgprs: 28
; ScratchSize: 0
; MemoryBound: 1
; FloatMode: 240
; IeeeMode: 1
; LDSByteSize: 0 bytes/workgroup (compile time only)
; SGPRBlocks: 11
; VGPRBlocks: 3
; NumSGPRsForWavesPerEU: 94
; NumVGPRsForWavesPerEU: 28
; AccumOffset: 28
; Occupancy: 8
; WaveLimiterHint : 0
; COMPUTE_PGM_RSRC2:SCRATCH_EN: 0
; COMPUTE_PGM_RSRC2:USER_SGPR: 6
; COMPUTE_PGM_RSRC2:TRAP_HANDLER: 0
; COMPUTE_PGM_RSRC2:TGID_X_EN: 1
; COMPUTE_PGM_RSRC2:TGID_Y_EN: 0
; COMPUTE_PGM_RSRC2:TGID_Z_EN: 0
; COMPUTE_PGM_RSRC2:TIDIG_COMP_CNT: 0
; COMPUTE_PGM_RSRC3_GFX90A:ACCUM_OFFSET: 6
; COMPUTE_PGM_RSRC3_GFX90A:TG_SPLIT: 0
	.section	.text._ZN2at6native12_GLOBAL__N_128conv_depthwise3d_cuda_kernelIddLin1ELin1ELin1ELi1ELi1ELi1EEEvN5torch10headeronly6detail27GenericPackedTensorAccessorINS5_14TensorAccessorIN3c108ArrayRefIlEEKT_Lm4ENS4_16DefaultPtrTraitsEiEENS_6detail16IndexBoundsCheckILm5EiEESC_Lm5ESD_iEENS6_INS7_ISA_SB_Lm4ESD_iEESH_SB_Lm5ESD_iEESI_PSC_iiiiiiiii,"axG",@progbits,_ZN2at6native12_GLOBAL__N_128conv_depthwise3d_cuda_kernelIddLin1ELin1ELin1ELi1ELi1ELi1EEEvN5torch10headeronly6detail27GenericPackedTensorAccessorINS5_14TensorAccessorIN3c108ArrayRefIlEEKT_Lm4ENS4_16DefaultPtrTraitsEiEENS_6detail16IndexBoundsCheckILm5EiEESC_Lm5ESD_iEENS6_INS7_ISA_SB_Lm4ESD_iEESH_SB_Lm5ESD_iEESI_PSC_iiiiiiiii,comdat
	.globl	_ZN2at6native12_GLOBAL__N_128conv_depthwise3d_cuda_kernelIddLin1ELin1ELin1ELi1ELi1ELi1EEEvN5torch10headeronly6detail27GenericPackedTensorAccessorINS5_14TensorAccessorIN3c108ArrayRefIlEEKT_Lm4ENS4_16DefaultPtrTraitsEiEENS_6detail16IndexBoundsCheckILm5EiEESC_Lm5ESD_iEENS6_INS7_ISA_SB_Lm4ESD_iEESH_SB_Lm5ESD_iEESI_PSC_iiiiiiiii ; -- Begin function _ZN2at6native12_GLOBAL__N_128conv_depthwise3d_cuda_kernelIddLin1ELin1ELin1ELi1ELi1ELi1EEEvN5torch10headeronly6detail27GenericPackedTensorAccessorINS5_14TensorAccessorIN3c108ArrayRefIlEEKT_Lm4ENS4_16DefaultPtrTraitsEiEENS_6detail16IndexBoundsCheckILm5EiEESC_Lm5ESD_iEENS6_INS7_ISA_SB_Lm4ESD_iEESH_SB_Lm5ESD_iEESI_PSC_iiiiiiiii
	.p2align	8
	.type	_ZN2at6native12_GLOBAL__N_128conv_depthwise3d_cuda_kernelIddLin1ELin1ELin1ELi1ELi1ELi1EEEvN5torch10headeronly6detail27GenericPackedTensorAccessorINS5_14TensorAccessorIN3c108ArrayRefIlEEKT_Lm4ENS4_16DefaultPtrTraitsEiEENS_6detail16IndexBoundsCheckILm5EiEESC_Lm5ESD_iEENS6_INS7_ISA_SB_Lm4ESD_iEESH_SB_Lm5ESD_iEESI_PSC_iiiiiiiii,@function
_ZN2at6native12_GLOBAL__N_128conv_depthwise3d_cuda_kernelIddLin1ELin1ELin1ELi1ELi1ELi1EEEvN5torch10headeronly6detail27GenericPackedTensorAccessorINS5_14TensorAccessorIN3c108ArrayRefIlEEKT_Lm4ENS4_16DefaultPtrTraitsEiEENS_6detail16IndexBoundsCheckILm5EiEESC_Lm5ESD_iEENS6_INS7_ISA_SB_Lm4ESD_iEESH_SB_Lm5ESD_iEESI_PSC_iiiiiiiii: ; @_ZN2at6native12_GLOBAL__N_128conv_depthwise3d_cuda_kernelIddLin1ELin1ELin1ELi1ELi1ELi1EEEvN5torch10headeronly6detail27GenericPackedTensorAccessorINS5_14TensorAccessorIN3c108ArrayRefIlEEKT_Lm4ENS4_16DefaultPtrTraitsEiEENS_6detail16IndexBoundsCheckILm5EiEESC_Lm5ESD_iEENS6_INS7_ISA_SB_Lm4ESD_iEESH_SB_Lm5ESD_iEESI_PSC_iiiiiiiii
; %bb.0:
	s_load_dwordx4 s[8:11], s[4:5], 0xc
	s_load_dwordx4 s[12:15], s[4:5], 0x38
	s_load_dwordx2 s[34:35], s[4:5], 0x48
	s_load_dword s2, s[4:5], 0xcc
	v_mov_b32_e32 v1, 0
	s_waitcnt lgkmcnt(0)
	s_abs_i32 s3, s8
	v_cvt_f32_u32_e32 v2, s3
	s_add_u32 s0, s4, 0xc0
	v_mov_b32_e32 v3, s6
	s_mul_i32 s6, s35, s12
	v_rcp_iflag_f32_e32 v2, v2
	s_addc_u32 s1, s5, 0
	s_and_b32 s2, s2, 0xffff
	v_mad_u64_u32 v[0:1], s[16:17], s2, v3, v[0:1]
	v_mul_f32_e32 v2, 0x4f7ffffe, v2
	v_cvt_u32_f32_e32 v2, v2
	s_ashr_i32 s7, s6, 31
	v_cmp_gt_i64_e32 vcc, s[6:7], v[0:1]
	v_readfirstlane_b32 s16, v2
	s_and_saveexec_b64 s[18:19], vcc
	s_cbranch_execz .LBB1_17
; %bb.1:
	s_sub_i32 s17, 0, s3
	s_mul_i32 s17, s17, s16
	s_mul_hi_u32 s17, s16, s17
	s_ashr_i32 s20, s8, 31
	s_abs_i32 s8, s13
	s_add_i32 s16, s16, s17
	s_mul_hi_u32 s21, s8, s16
	s_mul_i32 s22, s21, s3
	s_ashr_i32 s12, s13, 31
	s_sub_i32 s22, s8, s22
	s_xor_b32 s20, s12, s20
	s_add_i32 s23, s21, 1
	s_sub_i32 s24, s22, s3
	s_cmp_ge_u32 s22, s3
	s_cselect_b32 s21, s23, s21
	s_cselect_b32 s22, s24, s22
	s_add_i32 s23, s21, 1
	s_cmp_ge_u32 s22, s3
	s_cselect_b32 s3, s23, s21
	s_xor_b32 s3, s3, s20
	s_load_dwordx2 s[36:37], s[4:5], 0x90
	s_load_dwordx4 s[16:19], s[4:5], 0x98
	s_load_dwordx2 s[38:39], s[4:5], 0xa8
	s_sub_i32 s3, s3, s20
	s_load_dwordx4 s[20:23], s[4:5], 0x70
	s_load_dword s56, s[0:1], 0x0
                                        ; kill: killed $sgpr0 killed $sgpr1
	s_waitcnt lgkmcnt(0)
	s_load_dword s23, s[4:5], 0x7c
	s_load_dwordx2 s[40:41], s[4:5], 0x0
	s_load_dwordx4 s[24:27], s[4:5], 0x1c
	s_load_dword s63, s[4:5], 0x2c
	s_load_dwordx2 s[50:51], s[4:5], 0x30
	s_mov_b32 s33, 0
	s_cmp_gt_i32 s20, 0
	s_cselect_b64 s[42:43], -1, 0
	s_cmp_gt_i32 s21, 0
	s_cselect_b64 s[44:45], -1, 0
	;; [unrolled: 2-line block ×3, first 2 shown]
	s_sub_i32 s28, s10, s21
	s_sub_i32 s0, s11, s22
	s_mul_i32 s58, s11, s28
	s_ashr_i32 s1, s0, 31
	s_ashr_i32 s59, s58, 31
	s_cmp_lg_u64 s[36:37], 0
	s_cselect_b64 s[48:49], -1, 0
	s_abs_i32 s62, s34
	v_cvt_f32_u32_e32 v2, s62
	s_abs_i32 s65, s15
	v_cvt_f32_u32_e32 v3, s65
	s_mul_i32 s64, s56, s2
	v_rcp_iflag_f32_e32 v2, v2
	s_sub_i32 s2, 0, s62
	v_rcp_iflag_f32_e32 v3, v3
	s_abs_i32 s67, s14
	v_mul_f32_e32 v2, 0x4f7ffffe, v2
	v_cvt_u32_f32_e32 v2, v2
	s_abs_i32 s70, s3
	v_cvt_f32_u32_e32 v5, s70
	s_load_dwordx2 s[54:55], s[4:5], 0x60
	s_load_dwordx4 s[28:31], s[4:5], 0x50
	v_mul_lo_u32 v4, s2, v2
	v_mul_hi_u32 v4, v2, v4
	v_add_u32_e32 v10, v2, v4
	v_mul_f32_e32 v2, 0x4f7ffffe, v3
	v_cvt_f32_u32_e32 v3, s67
	v_cvt_u32_f32_e32 v2, v2
	s_sub_i32 s2, 0, s65
	s_mov_b64 s[52:53], 0
	v_rcp_iflag_f32_e32 v3, v3
	v_mul_lo_u32 v4, s2, v2
	v_mul_hi_u32 v4, v2, v4
	v_add_u32_e32 v11, v2, v4
	v_mul_f32_e32 v2, 0x4f7ffffe, v3
	v_cvt_u32_f32_e32 v2, v2
	v_cvt_f32_u32_e32 v3, s8
	s_sub_i32 s2, 0, s67
	s_ashr_i32 s66, s34, 31
	v_mul_lo_u32 v4, s2, v2
	v_rcp_iflag_f32_e32 v3, v3
	v_mul_hi_u32 v4, v2, v4
	v_add_u32_e32 v12, v2, v4
	v_rcp_iflag_f32_e32 v2, v5
	v_mul_f32_e32 v3, 0x4f7ffffe, v3
	v_cvt_u32_f32_e32 v3, v3
	s_sub_i32 s2, 0, s8
	v_mul_f32_e32 v2, 0x4f7ffffe, v2
	v_cvt_u32_f32_e32 v2, v2
	v_mul_lo_u32 v4, s2, v3
	v_mul_hi_u32 v4, v3, v4
	s_sub_i32 s2, 0, s70
	v_add_u32_e32 v13, v3, v4
	v_mul_lo_u32 v3, s2, v2
	v_mul_hi_u32 v3, v2, v3
	s_ashr_i32 s68, s15, 31
	s_ashr_i32 s69, s14, 31
	;; [unrolled: 1-line block ×3, first 2 shown]
	v_add_u32_e32 v14, v2, v3
	s_lshl_b64 s[56:57], s[0:1], 3
	s_lshl_b64 s[58:59], s[58:59], 3
	s_branch .LBB1_3
.LBB1_2:                                ;   in Loop: Header=BB1_3 Depth=1
	v_mul_lo_u32 v6, v18, s35
	v_ashrrev_i32_e32 v7, 31, v6
	v_lshlrev_b64 v[6:7], 3, v[6:7]
	s_waitcnt lgkmcnt(0)
	v_mov_b32_e32 v3, s51
	v_add_co_u32_e32 v6, vcc, s50, v6
	v_mul_lo_u32 v2, s28, v2
	v_addc_co_u32_e32 v7, vcc, v3, v7, vcc
	v_ashrrev_i32_e32 v3, 31, v2
	v_lshlrev_b64 v[2:3], 3, v[2:3]
	v_add_co_u32_e32 v6, vcc, v6, v2
	v_mul_lo_u32 v2, s29, v17
	v_addc_co_u32_e32 v7, vcc, v7, v3, vcc
	v_ashrrev_i32_e32 v3, 31, v2
	v_lshlrev_b64 v[2:3], 3, v[2:3]
	;; [unrolled: 5-line block ×4, first 2 shown]
	v_add_co_u32_e32 v2, vcc, v6, v2
	v_addc_co_u32_e32 v3, vcc, v7, v3, vcc
	v_mov_b32_e32 v6, s33
	v_add_co_u32_e32 v0, vcc, s64, v0
	v_addc_co_u32_e32 v1, vcc, v1, v6, vcc
	v_cmp_le_i64_e32 vcc, s[6:7], v[0:1]
	s_or_b64 s[52:53], vcc, s[52:53]
	global_store_dwordx2 v[2:3], v[4:5], off
	s_andn2_b64 exec, exec, s[52:53]
	s_cbranch_execz .LBB1_17
.LBB1_3:                                ; =>This Loop Header: Depth=1
                                        ;     Child Loop BB1_6 Depth 2
                                        ;       Child Loop BB1_9 Depth 3
                                        ;         Child Loop BB1_12 Depth 4
	v_sub_u32_e32 v3, 0, v0
	v_max_i32_e32 v3, v0, v3
	v_mul_hi_u32 v4, v3, v10
	v_mul_lo_u32 v5, v4, s62
	v_sub_u32_e32 v3, v3, v5
	v_add_u32_e32 v5, 1, v4
	v_cmp_le_u32_e32 vcc, s62, v3
	v_cndmask_b32_e32 v4, v4, v5, vcc
	v_subrev_u32_e32 v5, s62, v3
	v_cndmask_b32_e32 v3, v3, v5, vcc
	v_ashrrev_i32_e32 v2, 31, v0
	v_add_u32_e32 v5, 1, v4
	v_cmp_le_u32_e32 vcc, s62, v3
	v_xor_b32_e32 v2, s66, v2
	v_cndmask_b32_e32 v3, v4, v5, vcc
	v_xor_b32_e32 v3, v3, v2
	v_sub_u32_e32 v2, v3, v2
	v_sub_u32_e32 v4, 0, v2
	v_max_i32_e32 v4, v2, v4
	v_mul_hi_u32 v5, v4, v11
	v_mul_lo_u32 v6, v5, s65
	v_sub_u32_e32 v4, v4, v6
	v_add_u32_e32 v6, 1, v5
	v_cmp_le_u32_e32 vcc, s65, v4
	v_cndmask_b32_e32 v5, v5, v6, vcc
	v_subrev_u32_e32 v6, s65, v4
	v_mul_lo_u32 v3, v2, s34
	v_cndmask_b32_e32 v4, v4, v6, vcc
	v_sub_u32_e32 v15, v0, v3
	v_ashrrev_i32_e32 v3, 31, v2
	v_add_u32_e32 v6, 1, v5
	v_cmp_le_u32_e32 vcc, s65, v4
	v_xor_b32_e32 v3, s68, v3
	v_cndmask_b32_e32 v4, v5, v6, vcc
	v_xor_b32_e32 v4, v4, v3
	v_sub_u32_e32 v3, v4, v3
	v_mul_lo_u32 v4, v3, s15
	v_sub_u32_e32 v16, v2, v4
	v_sub_u32_e32 v4, 0, v3
	v_max_i32_e32 v4, v3, v4
	v_mul_hi_u32 v5, v4, v12
	v_mul_lo_u32 v6, v5, s67
	v_sub_u32_e32 v4, v4, v6
	v_add_u32_e32 v6, 1, v5
	v_cmp_le_u32_e32 vcc, s67, v4
	v_cndmask_b32_e32 v5, v5, v6, vcc
	v_subrev_u32_e32 v6, s67, v4
	v_cndmask_b32_e32 v4, v4, v6, vcc
	v_ashrrev_i32_e32 v2, 31, v3
	v_add_u32_e32 v6, 1, v5
	v_cmp_le_u32_e32 vcc, s67, v4
	v_xor_b32_e32 v2, s69, v2
	v_cndmask_b32_e32 v4, v5, v6, vcc
	v_xor_b32_e32 v4, v4, v2
	v_sub_u32_e32 v2, v4, v2
	v_mul_lo_u32 v4, v2, s14
	v_sub_u32_e32 v17, v3, v4
	v_sub_u32_e32 v4, 0, v2
	v_max_i32_e32 v4, v2, v4
	v_mul_hi_u32 v5, v4, v13
	v_mul_lo_u32 v6, v5, s8
	v_sub_u32_e32 v4, v4, v6
	v_add_u32_e32 v6, 1, v5
	v_cmp_le_u32_e32 vcc, s8, v4
	v_cndmask_b32_e32 v5, v5, v6, vcc
	v_subrev_u32_e32 v6, s8, v4
	v_cndmask_b32_e32 v4, v4, v6, vcc
	v_ashrrev_i32_e32 v3, 31, v2
	v_add_u32_e32 v6, 1, v5
	v_cmp_le_u32_e32 vcc, s8, v4
	v_xor_b32_e32 v3, s12, v3
	v_cndmask_b32_e32 v4, v5, v6, vcc
	v_xor_b32_e32 v4, v4, v3
	v_sub_u32_e32 v18, v4, v3
	v_mul_lo_u32 v3, v18, s13
	v_sub_u32_e32 v2, v2, v3
	s_andn2_b64 vcc, exec, s[42:43]
	v_ashrrev_i32_e32 v3, 31, v2
	s_cbranch_vccnz .LBB1_14
; %bb.4:                                ;   in Loop: Header=BB1_3 Depth=1
	v_mul_lo_u32 v4, v15, s18
	v_subrev_u32_e32 v19, s39, v4
	v_mul_lo_u32 v4, v16, s17
	v_subrev_u32_e32 v20, s38, v4
	;; [unrolled: 2-line block ×3, first 2 shown]
	s_waitcnt lgkmcnt(0)
	v_mul_lo_u32 v4, s24, v18
	v_ashrrev_i32_e32 v5, 31, v4
	v_lshlrev_b64 v[4:5], 3, v[4:5]
	v_mov_b32_e32 v6, s41
	v_add_co_u32_e32 v7, vcc, s40, v4
	v_addc_co_u32_e32 v6, vcc, v6, v5, vcc
	v_sub_u32_e32 v5, 0, v2
	v_max_i32_e32 v5, v2, v5
	v_mul_hi_u32 v8, v5, v14
	v_mul_lo_u32 v9, v8, s70
	v_sub_u32_e32 v5, v5, v9
	v_add_u32_e32 v9, 1, v8
	v_cmp_le_u32_e32 vcc, s70, v5
	v_cndmask_b32_e32 v8, v8, v9, vcc
	v_subrev_u32_e32 v9, s70, v5
	v_cndmask_b32_e32 v5, v5, v9, vcc
	v_add_u32_e32 v9, 1, v8
	v_cmp_le_u32_e32 vcc, s70, v5
	v_xor_b32_e32 v4, s71, v3
	v_cndmask_b32_e32 v5, v8, v9, vcc
	v_xor_b32_e32 v5, v5, v4
	v_sub_u32_e32 v4, v5, v4
	v_mul_lo_u32 v4, s25, v4
	v_ashrrev_i32_e32 v5, 31, v4
	v_lshlrev_b64 v[4:5], 3, v[4:5]
	v_add_co_u32_e32 v7, vcc, v7, v4
	v_mul_lo_u32 v4, s26, v21
	v_addc_co_u32_e32 v6, vcc, v6, v5, vcc
	v_ashrrev_i32_e32 v5, 31, v4
	v_lshlrev_b64 v[4:5], 3, v[4:5]
	v_add_co_u32_e32 v7, vcc, v7, v4
	v_mul_lo_u32 v4, s27, v20
	v_addc_co_u32_e32 v6, vcc, v6, v5, vcc
	;; [unrolled: 5-line block ×4, first 2 shown]
	v_ashrrev_i32_e32 v5, 31, v4
	v_lshlrev_b64 v[4:5], 3, v[4:5]
	v_mov_b32_e32 v9, s55
	v_add_co_u32_e32 v8, vcc, s54, v4
	s_mov_b32 s72, 0
	v_addc_co_u32_e32 v9, vcc, v9, v5, vcc
	v_pk_mov_b32 v[4:5], 0, 0
	s_branch .LBB1_6
.LBB1_5:                                ;   in Loop: Header=BB1_6 Depth=2
	v_mov_b32_e32 v22, s59
	s_add_i32 s72, s72, 1
	v_add_co_u32_e32 v6, vcc, s58, v6
	s_cmp_eq_u32 s72, s20
	v_addc_co_u32_e32 v7, vcc, v7, v22, vcc
	s_cbranch_scc1 .LBB1_15
.LBB1_6:                                ;   Parent Loop BB1_3 Depth=1
                                        ; =>  This Loop Header: Depth=2
                                        ;       Child Loop BB1_9 Depth 3
                                        ;         Child Loop BB1_12 Depth 4
	s_andn2_b64 vcc, exec, s[44:45]
	s_cbranch_vccnz .LBB1_5
; %bb.7:                                ;   in Loop: Header=BB1_6 Depth=2
	v_add_u32_e32 v22, s72, v21
	v_cmp_lt_i32_e64 s[0:1], -1, v22
	v_cmp_gt_i32_e64 s[2:3], s9, v22
	s_mov_b32 s73, 0
	s_branch .LBB1_9
.LBB1_8:                                ;   in Loop: Header=BB1_9 Depth=3
	v_mov_b32_e32 v22, s57
	s_add_i32 s73, s73, 1
	v_add_co_u32_e32 v6, vcc, s56, v6
	s_cmp_eq_u32 s73, s21
	v_addc_co_u32_e32 v7, vcc, v7, v22, vcc
	s_cbranch_scc1 .LBB1_5
.LBB1_9:                                ;   Parent Loop BB1_3 Depth=1
                                        ;     Parent Loop BB1_6 Depth=2
                                        ; =>    This Loop Header: Depth=3
                                        ;         Child Loop BB1_12 Depth 4
	s_andn2_b64 vcc, exec, s[46:47]
	s_cbranch_vccnz .LBB1_8
; %bb.10:                               ;   in Loop: Header=BB1_9 Depth=3
	v_add_u32_e32 v22, s73, v20
	v_cmp_lt_i32_e32 vcc, -1, v22
	s_and_b64 s[60:61], s[0:1], vcc
	v_cmp_gt_i32_e32 vcc, s10, v22
	v_mov_b32_e32 v22, v19
	s_mov_b32 s74, s22
	s_branch .LBB1_12
.LBB1_11:                               ;   in Loop: Header=BB1_12 Depth=4
	s_or_b64 exec, exec, s[4:5]
	v_add_co_u32_e64 v8, s[4:5], 8, v8
	v_addc_co_u32_e64 v9, s[4:5], 0, v9, s[4:5]
	v_add_co_u32_e64 v6, s[4:5], 8, v6
	s_add_i32 s74, s74, -1
	v_addc_co_u32_e64 v7, s[4:5], 0, v7, s[4:5]
	s_cmp_eq_u32 s74, 0
	v_add_u32_e32 v22, 1, v22
	s_cbranch_scc1 .LBB1_8
.LBB1_12:                               ;   Parent Loop BB1_3 Depth=1
                                        ;     Parent Loop BB1_6 Depth=2
                                        ;       Parent Loop BB1_9 Depth=3
                                        ; =>      This Inner Loop Header: Depth=4
	v_cmp_lt_i32_e64 s[4:5], -1, v22
	s_and_b64 s[4:5], s[60:61], s[4:5]
	s_and_b64 s[4:5], s[4:5], s[2:3]
	s_and_b64 s[76:77], s[4:5], vcc
	v_cmp_gt_i32_e64 s[4:5], s11, v22
	s_and_b64 s[76:77], s[76:77], s[4:5]
	s_and_saveexec_b64 s[4:5], s[76:77]
	s_cbranch_execz .LBB1_11
; %bb.13:                               ;   in Loop: Header=BB1_12 Depth=4
	global_load_dwordx2 v[24:25], v[8:9], off
	global_load_dwordx2 v[26:27], v[6:7], off
	s_waitcnt vmcnt(0)
	v_fmac_f64_e32 v[4:5], v[24:25], v[26:27]
	s_branch .LBB1_11
.LBB1_14:                               ;   in Loop: Header=BB1_3 Depth=1
	v_pk_mov_b32 v[4:5], 0, 0
.LBB1_15:                               ;   in Loop: Header=BB1_3 Depth=1
	s_and_b64 vcc, exec, s[48:49]
	s_cbranch_vccz .LBB1_2
; %bb.16:                               ;   in Loop: Header=BB1_3 Depth=1
	v_lshlrev_b64 v[6:7], 3, v[2:3]
	v_mov_b32_e32 v3, s37
	v_add_co_u32_e32 v6, vcc, s36, v6
	v_addc_co_u32_e32 v7, vcc, v3, v7, vcc
	global_load_dwordx2 v[6:7], v[6:7], off
	s_waitcnt vmcnt(0)
	v_add_f64 v[4:5], v[4:5], v[6:7]
	s_branch .LBB1_2
.LBB1_17:
	s_endpgm
	.section	.rodata,"a",@progbits
	.p2align	6, 0x0
	.amdhsa_kernel _ZN2at6native12_GLOBAL__N_128conv_depthwise3d_cuda_kernelIddLin1ELin1ELin1ELi1ELi1ELi1EEEvN5torch10headeronly6detail27GenericPackedTensorAccessorINS5_14TensorAccessorIN3c108ArrayRefIlEEKT_Lm4ENS4_16DefaultPtrTraitsEiEENS_6detail16IndexBoundsCheckILm5EiEESC_Lm5ESD_iEENS6_INS7_ISA_SB_Lm4ESD_iEESH_SB_Lm5ESD_iEESI_PSC_iiiiiiiii
		.amdhsa_group_segment_fixed_size 0
		.amdhsa_private_segment_fixed_size 0
		.amdhsa_kernarg_size 448
		.amdhsa_user_sgpr_count 6
		.amdhsa_user_sgpr_private_segment_buffer 1
		.amdhsa_user_sgpr_dispatch_ptr 0
		.amdhsa_user_sgpr_queue_ptr 0
		.amdhsa_user_sgpr_kernarg_segment_ptr 1
		.amdhsa_user_sgpr_dispatch_id 0
		.amdhsa_user_sgpr_flat_scratch_init 0
		.amdhsa_user_sgpr_kernarg_preload_length 0
		.amdhsa_user_sgpr_kernarg_preload_offset 0
		.amdhsa_user_sgpr_private_segment_size 0
		.amdhsa_uses_dynamic_stack 0
		.amdhsa_system_sgpr_private_segment_wavefront_offset 0
		.amdhsa_system_sgpr_workgroup_id_x 1
		.amdhsa_system_sgpr_workgroup_id_y 0
		.amdhsa_system_sgpr_workgroup_id_z 0
		.amdhsa_system_sgpr_workgroup_info 0
		.amdhsa_system_vgpr_workitem_id 0
		.amdhsa_next_free_vgpr 28
		.amdhsa_next_free_sgpr 78
		.amdhsa_accum_offset 28
		.amdhsa_reserve_vcc 1
		.amdhsa_reserve_flat_scratch 0
		.amdhsa_float_round_mode_32 0
		.amdhsa_float_round_mode_16_64 0
		.amdhsa_float_denorm_mode_32 3
		.amdhsa_float_denorm_mode_16_64 3
		.amdhsa_dx10_clamp 1
		.amdhsa_ieee_mode 1
		.amdhsa_fp16_overflow 0
		.amdhsa_tg_split 0
		.amdhsa_exception_fp_ieee_invalid_op 0
		.amdhsa_exception_fp_denorm_src 0
		.amdhsa_exception_fp_ieee_div_zero 0
		.amdhsa_exception_fp_ieee_overflow 0
		.amdhsa_exception_fp_ieee_underflow 0
		.amdhsa_exception_fp_ieee_inexact 0
		.amdhsa_exception_int_div_zero 0
	.end_amdhsa_kernel
	.section	.text._ZN2at6native12_GLOBAL__N_128conv_depthwise3d_cuda_kernelIddLin1ELin1ELin1ELi1ELi1ELi1EEEvN5torch10headeronly6detail27GenericPackedTensorAccessorINS5_14TensorAccessorIN3c108ArrayRefIlEEKT_Lm4ENS4_16DefaultPtrTraitsEiEENS_6detail16IndexBoundsCheckILm5EiEESC_Lm5ESD_iEENS6_INS7_ISA_SB_Lm4ESD_iEESH_SB_Lm5ESD_iEESI_PSC_iiiiiiiii,"axG",@progbits,_ZN2at6native12_GLOBAL__N_128conv_depthwise3d_cuda_kernelIddLin1ELin1ELin1ELi1ELi1ELi1EEEvN5torch10headeronly6detail27GenericPackedTensorAccessorINS5_14TensorAccessorIN3c108ArrayRefIlEEKT_Lm4ENS4_16DefaultPtrTraitsEiEENS_6detail16IndexBoundsCheckILm5EiEESC_Lm5ESD_iEENS6_INS7_ISA_SB_Lm4ESD_iEESH_SB_Lm5ESD_iEESI_PSC_iiiiiiiii,comdat
.Lfunc_end1:
	.size	_ZN2at6native12_GLOBAL__N_128conv_depthwise3d_cuda_kernelIddLin1ELin1ELin1ELi1ELi1ELi1EEEvN5torch10headeronly6detail27GenericPackedTensorAccessorINS5_14TensorAccessorIN3c108ArrayRefIlEEKT_Lm4ENS4_16DefaultPtrTraitsEiEENS_6detail16IndexBoundsCheckILm5EiEESC_Lm5ESD_iEENS6_INS7_ISA_SB_Lm4ESD_iEESH_SB_Lm5ESD_iEESI_PSC_iiiiiiiii, .Lfunc_end1-_ZN2at6native12_GLOBAL__N_128conv_depthwise3d_cuda_kernelIddLin1ELin1ELin1ELi1ELi1ELi1EEEvN5torch10headeronly6detail27GenericPackedTensorAccessorINS5_14TensorAccessorIN3c108ArrayRefIlEEKT_Lm4ENS4_16DefaultPtrTraitsEiEENS_6detail16IndexBoundsCheckILm5EiEESC_Lm5ESD_iEENS6_INS7_ISA_SB_Lm4ESD_iEESH_SB_Lm5ESD_iEESI_PSC_iiiiiiiii
                                        ; -- End function
	.section	.AMDGPU.csdata,"",@progbits
; Kernel info:
; codeLenInByte = 1788
; NumSgprs: 82
; NumVgprs: 28
; NumAgprs: 0
; TotalNumVgprs: 28
; ScratchSize: 0
; MemoryBound: 1
; FloatMode: 240
; IeeeMode: 1
; LDSByteSize: 0 bytes/workgroup (compile time only)
; SGPRBlocks: 10
; VGPRBlocks: 3
; NumSGPRsForWavesPerEU: 82
; NumVGPRsForWavesPerEU: 28
; AccumOffset: 28
; Occupancy: 8
; WaveLimiterHint : 0
; COMPUTE_PGM_RSRC2:SCRATCH_EN: 0
; COMPUTE_PGM_RSRC2:USER_SGPR: 6
; COMPUTE_PGM_RSRC2:TRAP_HANDLER: 0
; COMPUTE_PGM_RSRC2:TGID_X_EN: 1
; COMPUTE_PGM_RSRC2:TGID_Y_EN: 0
; COMPUTE_PGM_RSRC2:TGID_Z_EN: 0
; COMPUTE_PGM_RSRC2:TIDIG_COMP_CNT: 0
; COMPUTE_PGM_RSRC3_GFX90A:ACCUM_OFFSET: 6
; COMPUTE_PGM_RSRC3_GFX90A:TG_SPLIT: 0
	.section	.text._ZN2at6native12_GLOBAL__N_128conv_depthwise3d_cuda_kernelIddLin1ELin1ELin1ELin1ELin1ELin1EEEvN5torch10headeronly6detail27GenericPackedTensorAccessorINS5_14TensorAccessorIN3c108ArrayRefIlEEKT_Lm4ENS4_16DefaultPtrTraitsEiEENS_6detail16IndexBoundsCheckILm5EiEESC_Lm5ESD_iEENS6_INS7_ISA_SB_Lm4ESD_iEESH_SB_Lm5ESD_iEESI_PSC_iiiiiiiii,"axG",@progbits,_ZN2at6native12_GLOBAL__N_128conv_depthwise3d_cuda_kernelIddLin1ELin1ELin1ELin1ELin1ELin1EEEvN5torch10headeronly6detail27GenericPackedTensorAccessorINS5_14TensorAccessorIN3c108ArrayRefIlEEKT_Lm4ENS4_16DefaultPtrTraitsEiEENS_6detail16IndexBoundsCheckILm5EiEESC_Lm5ESD_iEENS6_INS7_ISA_SB_Lm4ESD_iEESH_SB_Lm5ESD_iEESI_PSC_iiiiiiiii,comdat
	.globl	_ZN2at6native12_GLOBAL__N_128conv_depthwise3d_cuda_kernelIddLin1ELin1ELin1ELin1ELin1ELin1EEEvN5torch10headeronly6detail27GenericPackedTensorAccessorINS5_14TensorAccessorIN3c108ArrayRefIlEEKT_Lm4ENS4_16DefaultPtrTraitsEiEENS_6detail16IndexBoundsCheckILm5EiEESC_Lm5ESD_iEENS6_INS7_ISA_SB_Lm4ESD_iEESH_SB_Lm5ESD_iEESI_PSC_iiiiiiiii ; -- Begin function _ZN2at6native12_GLOBAL__N_128conv_depthwise3d_cuda_kernelIddLin1ELin1ELin1ELin1ELin1ELin1EEEvN5torch10headeronly6detail27GenericPackedTensorAccessorINS5_14TensorAccessorIN3c108ArrayRefIlEEKT_Lm4ENS4_16DefaultPtrTraitsEiEENS_6detail16IndexBoundsCheckILm5EiEESC_Lm5ESD_iEENS6_INS7_ISA_SB_Lm4ESD_iEESH_SB_Lm5ESD_iEESI_PSC_iiiiiiiii
	.p2align	8
	.type	_ZN2at6native12_GLOBAL__N_128conv_depthwise3d_cuda_kernelIddLin1ELin1ELin1ELin1ELin1ELin1EEEvN5torch10headeronly6detail27GenericPackedTensorAccessorINS5_14TensorAccessorIN3c108ArrayRefIlEEKT_Lm4ENS4_16DefaultPtrTraitsEiEENS_6detail16IndexBoundsCheckILm5EiEESC_Lm5ESD_iEENS6_INS7_ISA_SB_Lm4ESD_iEESH_SB_Lm5ESD_iEESI_PSC_iiiiiiiii,@function
_ZN2at6native12_GLOBAL__N_128conv_depthwise3d_cuda_kernelIddLin1ELin1ELin1ELin1ELin1ELin1EEEvN5torch10headeronly6detail27GenericPackedTensorAccessorINS5_14TensorAccessorIN3c108ArrayRefIlEEKT_Lm4ENS4_16DefaultPtrTraitsEiEENS_6detail16IndexBoundsCheckILm5EiEESC_Lm5ESD_iEENS6_INS7_ISA_SB_Lm4ESD_iEESH_SB_Lm5ESD_iEESI_PSC_iiiiiiiii: ; @_ZN2at6native12_GLOBAL__N_128conv_depthwise3d_cuda_kernelIddLin1ELin1ELin1ELin1ELin1ELin1EEEvN5torch10headeronly6detail27GenericPackedTensorAccessorINS5_14TensorAccessorIN3c108ArrayRefIlEEKT_Lm4ENS4_16DefaultPtrTraitsEiEENS_6detail16IndexBoundsCheckILm5EiEESC_Lm5ESD_iEENS6_INS7_ISA_SB_Lm4ESD_iEESH_SB_Lm5ESD_iEESI_PSC_iiiiiiiii
; %bb.0:
	s_load_dwordx4 s[16:19], s[4:5], 0xc
	s_load_dwordx4 s[20:23], s[4:5], 0x38
	s_load_dwordx2 s[34:35], s[4:5], 0x48
	s_load_dword s2, s[4:5], 0xcc
	v_mov_b32_e32 v1, 0
	s_waitcnt lgkmcnt(0)
	s_abs_i32 s3, s16
	v_cvt_f32_u32_e32 v2, s3
	s_add_u32 s0, s4, 0xc0
	v_mov_b32_e32 v3, s6
	s_mul_i32 s6, s35, s20
	v_rcp_iflag_f32_e32 v2, v2
	s_addc_u32 s1, s5, 0
	s_and_b32 s2, s2, 0xffff
	v_mad_u64_u32 v[0:1], s[8:9], s2, v3, v[0:1]
	v_mul_f32_e32 v2, 0x4f7ffffe, v2
	v_cvt_u32_f32_e32 v2, v2
	s_ashr_i32 s7, s6, 31
	v_cmp_gt_i64_e32 vcc, s[6:7], v[0:1]
	v_readfirstlane_b32 s8, v2
	s_and_saveexec_b64 s[10:11], vcc
	s_cbranch_execz .LBB2_17
; %bb.1:
	s_sub_i32 s9, 0, s3
	s_mul_i32 s9, s9, s8
	s_mul_hi_u32 s9, s8, s9
	s_ashr_i32 s24, s16, 31
	s_abs_i32 s16, s21
	s_add_i32 s8, s8, s9
	s_mul_hi_u32 s25, s16, s8
	s_mul_i32 s26, s25, s3
	s_ashr_i32 s20, s21, 31
	s_sub_i32 s26, s16, s26
	s_xor_b32 s24, s20, s24
	s_add_i32 s27, s25, 1
	s_sub_i32 s28, s26, s3
	s_cmp_ge_u32 s26, s3
	s_cselect_b32 s25, s27, s25
	s_cselect_b32 s26, s28, s26
	s_add_i32 s27, s25, 1
	s_cmp_ge_u32 s26, s3
	s_cselect_b32 s3, s27, s25
	s_xor_b32 s3, s3, s24
	s_load_dwordx2 s[40:41], s[4:5], 0x90
	s_load_dwordx8 s[8:15], s[4:5], 0x98
	s_load_dword s42, s[4:5], 0xb8
	s_sub_i32 s3, s3, s24
	s_load_dwordx4 s[24:27], s[4:5], 0x70
	s_load_dword s60, s[0:1], 0x0
                                        ; kill: killed $sgpr0 killed $sgpr1
	s_waitcnt lgkmcnt(0)
	s_load_dword s27, s[4:5], 0x7c
	s_load_dwordx2 s[44:45], s[4:5], 0x0
	s_load_dwordx4 s[28:31], s[4:5], 0x1c
	s_mul_i32 s36, s18, s14
	s_mul_i32 s0, s19, s15
	s_cmp_gt_i32 s24, 0
	s_cselect_b64 s[46:47], -1, 0
	s_cmp_gt_i32 s25, 0
	s_cselect_b64 s[48:49], -1, 0
	s_cmp_gt_i32 s26, 0
	s_mul_i32 s37, s25, s15
	s_cselect_b64 s[50:51], -1, 0
	s_mul_i32 s1, s26, s42
	s_sub_i32 s36, s36, s37
	s_sub_i32 s0, s0, s1
	s_mul_i32 s64, s36, s19
	s_ashr_i32 s43, s42, 31
	s_ashr_i32 s1, s0, 31
	;; [unrolled: 1-line block ×3, first 2 shown]
	s_cmp_lg_u64 s[40:41], 0
	s_cselect_b64 s[52:53], -1, 0
	s_abs_i32 s68, s34
	v_cvt_f32_u32_e32 v2, s68
	s_abs_i32 s71, s23
	v_cvt_f32_u32_e32 v3, s71
	s_mul_i32 s70, s60, s2
	v_rcp_iflag_f32_e32 v2, v2
	s_sub_i32 s2, 0, s68
	v_rcp_iflag_f32_e32 v3, v3
	s_abs_i32 s73, s22
	v_mul_f32_e32 v2, 0x4f7ffffe, v2
	v_cvt_u32_f32_e32 v2, v2
	s_abs_i32 s76, s3
	v_cvt_f32_u32_e32 v5, s76
	s_load_dword s69, s[4:5], 0x2c
	s_load_dwordx2 s[54:55], s[4:5], 0x30
	v_mul_lo_u32 v4, s2, v2
	v_mul_hi_u32 v4, v2, v4
	v_add_u32_e32 v10, v2, v4
	v_mul_f32_e32 v2, 0x4f7ffffe, v3
	v_cvt_f32_u32_e32 v3, s73
	v_cvt_u32_f32_e32 v2, v2
	s_sub_i32 s2, 0, s71
	s_load_dwordx2 s[58:59], s[4:5], 0x60
	s_load_dwordx4 s[36:39], s[4:5], 0x50
	v_rcp_iflag_f32_e32 v3, v3
	v_mul_lo_u32 v4, s2, v2
	v_mul_hi_u32 v4, v2, v4
	v_add_u32_e32 v11, v2, v4
	v_mul_f32_e32 v2, 0x4f7ffffe, v3
	v_cvt_u32_f32_e32 v2, v2
	v_cvt_f32_u32_e32 v3, s16
	s_sub_i32 s2, 0, s73
	s_mov_b32 s33, 0
	v_mul_lo_u32 v4, s2, v2
	v_rcp_iflag_f32_e32 v3, v3
	v_mul_hi_u32 v4, v2, v4
	v_add_u32_e32 v12, v2, v4
	v_rcp_iflag_f32_e32 v2, v5
	v_mul_f32_e32 v3, 0x4f7ffffe, v3
	v_cvt_u32_f32_e32 v3, v3
	s_sub_i32 s2, 0, s16
	v_mul_f32_e32 v2, 0x4f7ffffe, v2
	v_cvt_u32_f32_e32 v2, v2
	v_mul_lo_u32 v4, s2, v3
	v_mul_hi_u32 v4, v3, v4
	s_sub_i32 s2, 0, s76
	v_add_u32_e32 v13, v3, v4
	v_mul_lo_u32 v3, s2, v2
	v_mul_hi_u32 v3, v2, v3
	s_mov_b64 s[56:57], 0
	s_ashr_i32 s72, s34, 31
	s_ashr_i32 s74, s23, 31
	;; [unrolled: 1-line block ×4, first 2 shown]
	v_add_u32_e32 v14, v2, v3
	s_lshl_b64 s[60:61], s[42:43], 3
	s_lshl_b64 s[62:63], s[0:1], 3
	;; [unrolled: 1-line block ×3, first 2 shown]
	s_branch .LBB2_3
.LBB2_2:                                ;   in Loop: Header=BB2_3 Depth=1
	v_mul_lo_u32 v6, v18, s35
	v_ashrrev_i32_e32 v7, 31, v6
	v_lshlrev_b64 v[6:7], 3, v[6:7]
	s_waitcnt lgkmcnt(0)
	v_mov_b32_e32 v3, s55
	v_add_co_u32_e32 v6, vcc, s54, v6
	v_mul_lo_u32 v2, s36, v2
	v_addc_co_u32_e32 v7, vcc, v3, v7, vcc
	v_ashrrev_i32_e32 v3, 31, v2
	v_lshlrev_b64 v[2:3], 3, v[2:3]
	v_add_co_u32_e32 v6, vcc, v6, v2
	v_mul_lo_u32 v2, s37, v17
	v_addc_co_u32_e32 v7, vcc, v7, v3, vcc
	v_ashrrev_i32_e32 v3, 31, v2
	v_lshlrev_b64 v[2:3], 3, v[2:3]
	;; [unrolled: 5-line block ×4, first 2 shown]
	v_add_co_u32_e32 v2, vcc, v6, v2
	v_addc_co_u32_e32 v3, vcc, v7, v3, vcc
	v_mov_b32_e32 v6, s33
	v_add_co_u32_e32 v0, vcc, s70, v0
	v_addc_co_u32_e32 v1, vcc, v1, v6, vcc
	v_cmp_le_i64_e32 vcc, s[6:7], v[0:1]
	s_or_b64 s[56:57], vcc, s[56:57]
	global_store_dwordx2 v[2:3], v[4:5], off
	s_andn2_b64 exec, exec, s[56:57]
	s_cbranch_execz .LBB2_17
.LBB2_3:                                ; =>This Loop Header: Depth=1
                                        ;     Child Loop BB2_6 Depth 2
                                        ;       Child Loop BB2_9 Depth 3
                                        ;         Child Loop BB2_12 Depth 4
	v_sub_u32_e32 v3, 0, v0
	v_max_i32_e32 v3, v0, v3
	v_mul_hi_u32 v4, v3, v10
	v_mul_lo_u32 v5, v4, s68
	v_sub_u32_e32 v3, v3, v5
	v_add_u32_e32 v5, 1, v4
	v_cmp_le_u32_e32 vcc, s68, v3
	v_cndmask_b32_e32 v4, v4, v5, vcc
	v_subrev_u32_e32 v5, s68, v3
	v_cndmask_b32_e32 v3, v3, v5, vcc
	v_ashrrev_i32_e32 v2, 31, v0
	v_add_u32_e32 v5, 1, v4
	v_cmp_le_u32_e32 vcc, s68, v3
	v_xor_b32_e32 v2, s72, v2
	v_cndmask_b32_e32 v3, v4, v5, vcc
	v_xor_b32_e32 v3, v3, v2
	v_sub_u32_e32 v2, v3, v2
	v_sub_u32_e32 v4, 0, v2
	v_max_i32_e32 v4, v2, v4
	v_mul_hi_u32 v5, v4, v11
	v_mul_lo_u32 v6, v5, s71
	v_sub_u32_e32 v4, v4, v6
	v_add_u32_e32 v6, 1, v5
	v_cmp_le_u32_e32 vcc, s71, v4
	v_cndmask_b32_e32 v5, v5, v6, vcc
	v_subrev_u32_e32 v6, s71, v4
	v_mul_lo_u32 v3, v2, s34
	v_cndmask_b32_e32 v4, v4, v6, vcc
	v_sub_u32_e32 v15, v0, v3
	v_ashrrev_i32_e32 v3, 31, v2
	v_add_u32_e32 v6, 1, v5
	v_cmp_le_u32_e32 vcc, s71, v4
	v_xor_b32_e32 v3, s74, v3
	v_cndmask_b32_e32 v4, v5, v6, vcc
	v_xor_b32_e32 v4, v4, v3
	v_sub_u32_e32 v3, v4, v3
	v_mul_lo_u32 v4, v3, s23
	v_sub_u32_e32 v16, v2, v4
	v_sub_u32_e32 v4, 0, v3
	v_max_i32_e32 v4, v3, v4
	v_mul_hi_u32 v5, v4, v12
	v_mul_lo_u32 v6, v5, s73
	v_sub_u32_e32 v4, v4, v6
	v_add_u32_e32 v6, 1, v5
	v_cmp_le_u32_e32 vcc, s73, v4
	v_cndmask_b32_e32 v5, v5, v6, vcc
	v_subrev_u32_e32 v6, s73, v4
	v_cndmask_b32_e32 v4, v4, v6, vcc
	v_ashrrev_i32_e32 v2, 31, v3
	v_add_u32_e32 v6, 1, v5
	v_cmp_le_u32_e32 vcc, s73, v4
	v_xor_b32_e32 v2, s75, v2
	v_cndmask_b32_e32 v4, v5, v6, vcc
	v_xor_b32_e32 v4, v4, v2
	v_sub_u32_e32 v2, v4, v2
	v_mul_lo_u32 v4, v2, s22
	v_sub_u32_e32 v17, v3, v4
	v_sub_u32_e32 v4, 0, v2
	v_max_i32_e32 v4, v2, v4
	v_mul_hi_u32 v5, v4, v13
	v_mul_lo_u32 v6, v5, s16
	v_sub_u32_e32 v4, v4, v6
	v_add_u32_e32 v6, 1, v5
	v_cmp_le_u32_e32 vcc, s16, v4
	v_cndmask_b32_e32 v5, v5, v6, vcc
	v_subrev_u32_e32 v6, s16, v4
	v_cndmask_b32_e32 v4, v4, v6, vcc
	v_ashrrev_i32_e32 v3, 31, v2
	v_add_u32_e32 v6, 1, v5
	v_cmp_le_u32_e32 vcc, s16, v4
	v_xor_b32_e32 v3, s20, v3
	v_cndmask_b32_e32 v4, v5, v6, vcc
	v_xor_b32_e32 v4, v4, v3
	v_sub_u32_e32 v18, v4, v3
	v_mul_lo_u32 v3, v18, s21
	v_sub_u32_e32 v2, v2, v3
	s_andn2_b64 vcc, exec, s[46:47]
	v_ashrrev_i32_e32 v3, 31, v2
	s_cbranch_vccnz .LBB2_14
; %bb.4:                                ;   in Loop: Header=BB2_3 Depth=1
	v_mul_lo_u32 v4, v15, s10
	v_subrev_u32_e32 v19, s13, v4
	v_mul_lo_u32 v4, v16, s9
	v_subrev_u32_e32 v20, s12, v4
	;; [unrolled: 2-line block ×3, first 2 shown]
	s_waitcnt lgkmcnt(0)
	v_mul_lo_u32 v4, s28, v18
	v_ashrrev_i32_e32 v5, 31, v4
	v_lshlrev_b64 v[4:5], 3, v[4:5]
	v_mov_b32_e32 v6, s45
	v_add_co_u32_e32 v7, vcc, s44, v4
	v_addc_co_u32_e32 v6, vcc, v6, v5, vcc
	v_sub_u32_e32 v5, 0, v2
	v_max_i32_e32 v5, v2, v5
	v_mul_hi_u32 v8, v5, v14
	v_mul_lo_u32 v9, v8, s76
	v_sub_u32_e32 v5, v5, v9
	v_add_u32_e32 v9, 1, v8
	v_cmp_le_u32_e32 vcc, s76, v5
	v_cndmask_b32_e32 v8, v8, v9, vcc
	v_subrev_u32_e32 v9, s76, v5
	v_cndmask_b32_e32 v5, v5, v9, vcc
	v_add_u32_e32 v9, 1, v8
	v_cmp_le_u32_e32 vcc, s76, v5
	v_xor_b32_e32 v4, s77, v3
	v_cndmask_b32_e32 v5, v8, v9, vcc
	v_xor_b32_e32 v5, v5, v4
	v_sub_u32_e32 v4, v5, v4
	v_mul_lo_u32 v4, s29, v4
	v_ashrrev_i32_e32 v5, 31, v4
	v_lshlrev_b64 v[4:5], 3, v[4:5]
	v_add_co_u32_e32 v7, vcc, v7, v4
	v_mul_lo_u32 v4, s30, v21
	v_addc_co_u32_e32 v6, vcc, v6, v5, vcc
	v_ashrrev_i32_e32 v5, 31, v4
	v_lshlrev_b64 v[4:5], 3, v[4:5]
	v_add_co_u32_e32 v7, vcc, v7, v4
	v_mul_lo_u32 v4, s31, v20
	v_addc_co_u32_e32 v6, vcc, v6, v5, vcc
	;; [unrolled: 5-line block ×4, first 2 shown]
	v_ashrrev_i32_e32 v5, 31, v4
	v_lshlrev_b64 v[4:5], 3, v[4:5]
	v_mov_b32_e32 v9, s59
	v_add_co_u32_e32 v8, vcc, s58, v4
	s_mov_b32 s43, 0
	v_addc_co_u32_e32 v9, vcc, v9, v5, vcc
	v_pk_mov_b32 v[4:5], 0, 0
	s_branch .LBB2_6
.LBB2_5:                                ;   in Loop: Header=BB2_6 Depth=2
	v_mov_b32_e32 v22, s65
	s_add_i32 s43, s43, 1
	v_add_co_u32_e32 v6, vcc, s64, v6
	s_cmp_eq_u32 s43, s24
	v_addc_co_u32_e32 v7, vcc, v7, v22, vcc
	s_cbranch_scc1 .LBB2_15
.LBB2_6:                                ;   Parent Loop BB2_3 Depth=1
                                        ; =>  This Loop Header: Depth=2
                                        ;       Child Loop BB2_9 Depth 3
                                        ;         Child Loop BB2_12 Depth 4
	s_andn2_b64 vcc, exec, s[48:49]
	s_cbranch_vccnz .LBB2_5
; %bb.7:                                ;   in Loop: Header=BB2_6 Depth=2
	s_mul_i32 s0, s43, s14
	v_add_u32_e32 v22, s0, v21
	v_cmp_lt_i32_e64 s[0:1], -1, v22
	v_cmp_gt_i32_e64 s[2:3], s17, v22
	s_mov_b32 s78, 0
	s_branch .LBB2_9
.LBB2_8:                                ;   in Loop: Header=BB2_9 Depth=3
	v_mov_b32_e32 v22, s63
	s_add_i32 s78, s78, 1
	v_add_co_u32_e32 v6, vcc, s62, v6
	s_cmp_eq_u32 s78, s25
	v_addc_co_u32_e32 v7, vcc, v7, v22, vcc
	s_cbranch_scc1 .LBB2_5
.LBB2_9:                                ;   Parent Loop BB2_3 Depth=1
                                        ;     Parent Loop BB2_6 Depth=2
                                        ; =>    This Loop Header: Depth=3
                                        ;         Child Loop BB2_12 Depth 4
	s_andn2_b64 vcc, exec, s[50:51]
	s_cbranch_vccnz .LBB2_8
; %bb.10:                               ;   in Loop: Header=BB2_9 Depth=3
	s_mul_i32 s4, s78, s15
	v_add_u32_e32 v22, s4, v20
	v_cmp_lt_i32_e32 vcc, -1, v22
	s_and_b64 s[66:67], s[0:1], vcc
	v_cmp_gt_i32_e32 vcc, s18, v22
	v_mov_b32_e32 v22, v19
	s_mov_b32 s79, s26
	s_branch .LBB2_12
.LBB2_11:                               ;   in Loop: Header=BB2_12 Depth=4
	s_or_b64 exec, exec, s[4:5]
	v_add_co_u32_e64 v8, s[4:5], 8, v8
	v_addc_co_u32_e64 v9, s[4:5], 0, v9, s[4:5]
	s_add_i32 s79, s79, -1
	v_mov_b32_e32 v23, s61
	v_add_co_u32_e64 v6, s[4:5], s60, v6
	v_add_u32_e32 v22, s42, v22
	s_cmp_eq_u32 s79, 0
	v_addc_co_u32_e64 v7, s[4:5], v7, v23, s[4:5]
	s_cbranch_scc1 .LBB2_8
.LBB2_12:                               ;   Parent Loop BB2_3 Depth=1
                                        ;     Parent Loop BB2_6 Depth=2
                                        ;       Parent Loop BB2_9 Depth=3
                                        ; =>      This Inner Loop Header: Depth=4
	v_cmp_lt_i32_e64 s[4:5], -1, v22
	s_and_b64 s[4:5], s[66:67], s[4:5]
	s_and_b64 s[4:5], s[4:5], s[2:3]
	s_and_b64 s[80:81], s[4:5], vcc
	v_cmp_gt_i32_e64 s[4:5], s19, v22
	s_and_b64 s[80:81], s[80:81], s[4:5]
	s_and_saveexec_b64 s[4:5], s[80:81]
	s_cbranch_execz .LBB2_11
; %bb.13:                               ;   in Loop: Header=BB2_12 Depth=4
	global_load_dwordx2 v[24:25], v[8:9], off
	global_load_dwordx2 v[26:27], v[6:7], off
	s_waitcnt vmcnt(0)
	v_fmac_f64_e32 v[4:5], v[24:25], v[26:27]
	s_branch .LBB2_11
.LBB2_14:                               ;   in Loop: Header=BB2_3 Depth=1
	v_pk_mov_b32 v[4:5], 0, 0
.LBB2_15:                               ;   in Loop: Header=BB2_3 Depth=1
	s_and_b64 vcc, exec, s[52:53]
	s_cbranch_vccz .LBB2_2
; %bb.16:                               ;   in Loop: Header=BB2_3 Depth=1
	v_lshlrev_b64 v[6:7], 3, v[2:3]
	v_mov_b32_e32 v3, s41
	v_add_co_u32_e32 v6, vcc, s40, v6
	v_addc_co_u32_e32 v7, vcc, v3, v7, vcc
	global_load_dwordx2 v[6:7], v[6:7], off
	s_waitcnt vmcnt(0)
	v_add_f64 v[4:5], v[4:5], v[6:7]
	s_branch .LBB2_2
.LBB2_17:
	s_endpgm
	.section	.rodata,"a",@progbits
	.p2align	6, 0x0
	.amdhsa_kernel _ZN2at6native12_GLOBAL__N_128conv_depthwise3d_cuda_kernelIddLin1ELin1ELin1ELin1ELin1ELin1EEEvN5torch10headeronly6detail27GenericPackedTensorAccessorINS5_14TensorAccessorIN3c108ArrayRefIlEEKT_Lm4ENS4_16DefaultPtrTraitsEiEENS_6detail16IndexBoundsCheckILm5EiEESC_Lm5ESD_iEENS6_INS7_ISA_SB_Lm4ESD_iEESH_SB_Lm5ESD_iEESI_PSC_iiiiiiiii
		.amdhsa_group_segment_fixed_size 0
		.amdhsa_private_segment_fixed_size 0
		.amdhsa_kernarg_size 448
		.amdhsa_user_sgpr_count 6
		.amdhsa_user_sgpr_private_segment_buffer 1
		.amdhsa_user_sgpr_dispatch_ptr 0
		.amdhsa_user_sgpr_queue_ptr 0
		.amdhsa_user_sgpr_kernarg_segment_ptr 1
		.amdhsa_user_sgpr_dispatch_id 0
		.amdhsa_user_sgpr_flat_scratch_init 0
		.amdhsa_user_sgpr_kernarg_preload_length 0
		.amdhsa_user_sgpr_kernarg_preload_offset 0
		.amdhsa_user_sgpr_private_segment_size 0
		.amdhsa_uses_dynamic_stack 0
		.amdhsa_system_sgpr_private_segment_wavefront_offset 0
		.amdhsa_system_sgpr_workgroup_id_x 1
		.amdhsa_system_sgpr_workgroup_id_y 0
		.amdhsa_system_sgpr_workgroup_id_z 0
		.amdhsa_system_sgpr_workgroup_info 0
		.amdhsa_system_vgpr_workitem_id 0
		.amdhsa_next_free_vgpr 28
		.amdhsa_next_free_sgpr 82
		.amdhsa_accum_offset 28
		.amdhsa_reserve_vcc 1
		.amdhsa_reserve_flat_scratch 0
		.amdhsa_float_round_mode_32 0
		.amdhsa_float_round_mode_16_64 0
		.amdhsa_float_denorm_mode_32 3
		.amdhsa_float_denorm_mode_16_64 3
		.amdhsa_dx10_clamp 1
		.amdhsa_ieee_mode 1
		.amdhsa_fp16_overflow 0
		.amdhsa_tg_split 0
		.amdhsa_exception_fp_ieee_invalid_op 0
		.amdhsa_exception_fp_denorm_src 0
		.amdhsa_exception_fp_ieee_div_zero 0
		.amdhsa_exception_fp_ieee_overflow 0
		.amdhsa_exception_fp_ieee_underflow 0
		.amdhsa_exception_fp_ieee_inexact 0
		.amdhsa_exception_int_div_zero 0
	.end_amdhsa_kernel
	.section	.text._ZN2at6native12_GLOBAL__N_128conv_depthwise3d_cuda_kernelIddLin1ELin1ELin1ELin1ELin1ELin1EEEvN5torch10headeronly6detail27GenericPackedTensorAccessorINS5_14TensorAccessorIN3c108ArrayRefIlEEKT_Lm4ENS4_16DefaultPtrTraitsEiEENS_6detail16IndexBoundsCheckILm5EiEESC_Lm5ESD_iEENS6_INS7_ISA_SB_Lm4ESD_iEESH_SB_Lm5ESD_iEESI_PSC_iiiiiiiii,"axG",@progbits,_ZN2at6native12_GLOBAL__N_128conv_depthwise3d_cuda_kernelIddLin1ELin1ELin1ELin1ELin1ELin1EEEvN5torch10headeronly6detail27GenericPackedTensorAccessorINS5_14TensorAccessorIN3c108ArrayRefIlEEKT_Lm4ENS4_16DefaultPtrTraitsEiEENS_6detail16IndexBoundsCheckILm5EiEESC_Lm5ESD_iEENS6_INS7_ISA_SB_Lm4ESD_iEESH_SB_Lm5ESD_iEESI_PSC_iiiiiiiii,comdat
.Lfunc_end2:
	.size	_ZN2at6native12_GLOBAL__N_128conv_depthwise3d_cuda_kernelIddLin1ELin1ELin1ELin1ELin1ELin1EEEvN5torch10headeronly6detail27GenericPackedTensorAccessorINS5_14TensorAccessorIN3c108ArrayRefIlEEKT_Lm4ENS4_16DefaultPtrTraitsEiEENS_6detail16IndexBoundsCheckILm5EiEESC_Lm5ESD_iEENS6_INS7_ISA_SB_Lm4ESD_iEESH_SB_Lm5ESD_iEESI_PSC_iiiiiiiii, .Lfunc_end2-_ZN2at6native12_GLOBAL__N_128conv_depthwise3d_cuda_kernelIddLin1ELin1ELin1ELin1ELin1ELin1EEEvN5torch10headeronly6detail27GenericPackedTensorAccessorINS5_14TensorAccessorIN3c108ArrayRefIlEEKT_Lm4ENS4_16DefaultPtrTraitsEiEENS_6detail16IndexBoundsCheckILm5EiEESC_Lm5ESD_iEENS6_INS7_ISA_SB_Lm4ESD_iEESH_SB_Lm5ESD_iEESI_PSC_iiiiiiiii
                                        ; -- End function
	.section	.AMDGPU.csdata,"",@progbits
; Kernel info:
; codeLenInByte = 1824
; NumSgprs: 86
; NumVgprs: 28
; NumAgprs: 0
; TotalNumVgprs: 28
; ScratchSize: 0
; MemoryBound: 1
; FloatMode: 240
; IeeeMode: 1
; LDSByteSize: 0 bytes/workgroup (compile time only)
; SGPRBlocks: 10
; VGPRBlocks: 3
; NumSGPRsForWavesPerEU: 86
; NumVGPRsForWavesPerEU: 28
; AccumOffset: 28
; Occupancy: 8
; WaveLimiterHint : 0
; COMPUTE_PGM_RSRC2:SCRATCH_EN: 0
; COMPUTE_PGM_RSRC2:USER_SGPR: 6
; COMPUTE_PGM_RSRC2:TRAP_HANDLER: 0
; COMPUTE_PGM_RSRC2:TGID_X_EN: 1
; COMPUTE_PGM_RSRC2:TGID_Y_EN: 0
; COMPUTE_PGM_RSRC2:TGID_Z_EN: 0
; COMPUTE_PGM_RSRC2:TIDIG_COMP_CNT: 0
; COMPUTE_PGM_RSRC3_GFX90A:ACCUM_OFFSET: 6
; COMPUTE_PGM_RSRC3_GFX90A:TG_SPLIT: 0
	.section	.text._ZN2at6native12_GLOBAL__N_128conv_depthwise3d_cuda_kernelIffLi3ELi3ELi3ELi1ELi1ELi1EEEvN5torch10headeronly6detail27GenericPackedTensorAccessorINS5_14TensorAccessorIN3c108ArrayRefIlEEKT_Lm4ENS4_16DefaultPtrTraitsEiEENS_6detail16IndexBoundsCheckILm5EiEESC_Lm5ESD_iEENS6_INS7_ISA_SB_Lm4ESD_iEESH_SB_Lm5ESD_iEESI_PSC_iiiiiiiii,"axG",@progbits,_ZN2at6native12_GLOBAL__N_128conv_depthwise3d_cuda_kernelIffLi3ELi3ELi3ELi1ELi1ELi1EEEvN5torch10headeronly6detail27GenericPackedTensorAccessorINS5_14TensorAccessorIN3c108ArrayRefIlEEKT_Lm4ENS4_16DefaultPtrTraitsEiEENS_6detail16IndexBoundsCheckILm5EiEESC_Lm5ESD_iEENS6_INS7_ISA_SB_Lm4ESD_iEESH_SB_Lm5ESD_iEESI_PSC_iiiiiiiii,comdat
	.globl	_ZN2at6native12_GLOBAL__N_128conv_depthwise3d_cuda_kernelIffLi3ELi3ELi3ELi1ELi1ELi1EEEvN5torch10headeronly6detail27GenericPackedTensorAccessorINS5_14TensorAccessorIN3c108ArrayRefIlEEKT_Lm4ENS4_16DefaultPtrTraitsEiEENS_6detail16IndexBoundsCheckILm5EiEESC_Lm5ESD_iEENS6_INS7_ISA_SB_Lm4ESD_iEESH_SB_Lm5ESD_iEESI_PSC_iiiiiiiii ; -- Begin function _ZN2at6native12_GLOBAL__N_128conv_depthwise3d_cuda_kernelIffLi3ELi3ELi3ELi1ELi1ELi1EEEvN5torch10headeronly6detail27GenericPackedTensorAccessorINS5_14TensorAccessorIN3c108ArrayRefIlEEKT_Lm4ENS4_16DefaultPtrTraitsEiEENS_6detail16IndexBoundsCheckILm5EiEESC_Lm5ESD_iEENS6_INS7_ISA_SB_Lm4ESD_iEESH_SB_Lm5ESD_iEESI_PSC_iiiiiiiii
	.p2align	8
	.type	_ZN2at6native12_GLOBAL__N_128conv_depthwise3d_cuda_kernelIffLi3ELi3ELi3ELi1ELi1ELi1EEEvN5torch10headeronly6detail27GenericPackedTensorAccessorINS5_14TensorAccessorIN3c108ArrayRefIlEEKT_Lm4ENS4_16DefaultPtrTraitsEiEENS_6detail16IndexBoundsCheckILm5EiEESC_Lm5ESD_iEENS6_INS7_ISA_SB_Lm4ESD_iEESH_SB_Lm5ESD_iEESI_PSC_iiiiiiiii,@function
_ZN2at6native12_GLOBAL__N_128conv_depthwise3d_cuda_kernelIffLi3ELi3ELi3ELi1ELi1ELi1EEEvN5torch10headeronly6detail27GenericPackedTensorAccessorINS5_14TensorAccessorIN3c108ArrayRefIlEEKT_Lm4ENS4_16DefaultPtrTraitsEiEENS_6detail16IndexBoundsCheckILm5EiEESC_Lm5ESD_iEENS6_INS7_ISA_SB_Lm4ESD_iEESH_SB_Lm5ESD_iEESI_PSC_iiiiiiiii: ; @_ZN2at6native12_GLOBAL__N_128conv_depthwise3d_cuda_kernelIffLi3ELi3ELi3ELi1ELi1ELi1EEEvN5torch10headeronly6detail27GenericPackedTensorAccessorINS5_14TensorAccessorIN3c108ArrayRefIlEEKT_Lm4ENS4_16DefaultPtrTraitsEiEENS_6detail16IndexBoundsCheckILm5EiEESC_Lm5ESD_iEENS6_INS7_ISA_SB_Lm4ESD_iEESH_SB_Lm5ESD_iEESI_PSC_iiiiiiiii
; %bb.0:
	s_load_dwordx4 s[28:31], s[4:5], 0xc
	s_load_dwordx4 s[36:39], s[4:5], 0x38
	s_load_dwordx2 s[34:35], s[4:5], 0x48
	s_load_dword s2, s[4:5], 0xcc
	v_mov_b32_e32 v1, 0
	s_waitcnt lgkmcnt(0)
	s_abs_i32 s3, s28
	v_cvt_f32_u32_e32 v2, s3
	s_add_u32 s0, s4, 0xc0
	v_mov_b32_e32 v3, s6
	s_mul_i32 s52, s35, s36
	v_rcp_iflag_f32_e32 v2, v2
	s_addc_u32 s1, s5, 0
	s_and_b32 s2, s2, 0xffff
	s_ashr_i32 s53, s52, 31
	v_mul_f32_e32 v2, 0x4f7ffffe, v2
	v_cvt_u32_f32_e32 v4, v2
	v_mad_u64_u32 v[2:3], s[8:9], s2, v3, v[0:1]
	v_cmp_gt_i64_e32 vcc, s[52:53], v[2:3]
	v_readfirstlane_b32 s7, v4
	s_and_saveexec_b64 s[8:9], vcc
	s_cbranch_execz .LBB3_59
; %bb.1:
	s_sub_i32 s9, 0, s3
	s_mul_i32 s9, s9, s7
	s_mul_hi_u32 s9, s7, s9
	s_ashr_i32 s8, s28, 31
	s_abs_i32 s28, s37
	s_add_i32 s7, s7, s9
	s_ashr_i32 s33, s37, 31
	s_mul_hi_u32 s7, s28, s7
	s_mul_hi_u32 s74, s2, s6
	s_mul_i32 s75, s2, s6
	s_xor_b32 s6, s33, s8
	s_mul_i32 s8, s7, s3
	s_sub_i32 s8, s28, s8
	s_add_i32 s9, s7, 1
	s_sub_i32 s10, s8, s3
	s_cmp_ge_u32 s8, s3
	s_cselect_b32 s7, s9, s7
	s_cselect_b32 s8, s10, s8
	s_add_i32 s9, s7, 1
	s_cmp_ge_u32 s8, s3
	s_cselect_b32 s3, s9, s7
	s_xor_b32 s3, s3, s6
	s_load_dwordx4 s[40:43], s[4:5], 0x98
	s_load_dwordx2 s[54:55], s[4:5], 0xa8
	s_sub_i32 s6, s3, s6
	s_load_dword s3, s[0:1], 0x0
	s_load_dwordx2 s[56:57], s[4:5], 0x90
	s_load_dword s76, s[4:5], 0x7c
	s_load_dwordx2 s[58:59], s[4:5], 0x0
	s_load_dwordx4 s[44:47], s[4:5], 0x1c
	s_load_dword s77, s[4:5], 0x2c
	s_load_dwordx2 s[60:61], s[4:5], 0x30
	s_add_i32 s0, s30, -3
	s_mul_i32 s0, s31, s0
	s_ashr_i32 s1, s0, 31
	s_waitcnt lgkmcnt(0)
	s_cmp_lg_u64 s[56:57], 0
	s_cselect_b64 s[62:63], -1, 0
	s_abs_i32 s78, s34
	v_cvt_f32_u32_e32 v2, s78
	s_abs_i32 s80, s39
	v_cvt_f32_u32_e32 v3, s80
	s_load_dwordx2 s[66:67], s[4:5], 0x60
	s_load_dwordx4 s[48:51], s[4:5], 0x50
	v_rcp_iflag_f32_e32 v2, v2
	s_sub_i32 s4, 0, s78
	v_rcp_iflag_f32_e32 v3, v3
	s_abs_i32 s82, s38
	v_mul_f32_e32 v2, 0x4f7ffffe, v2
	v_cvt_u32_f32_e32 v2, v2
	s_abs_i32 s85, s6
	v_cvt_f32_u32_e32 v5, s85
	s_mul_i32 s79, s3, s2
	v_mul_lo_u32 v4, s4, v2
	v_mul_hi_u32 v4, v2, v4
	v_add_u32_e32 v8, v2, v4
	v_mul_f32_e32 v2, 0x4f7ffffe, v3
	v_cvt_f32_u32_e32 v3, s82
	v_cvt_u32_f32_e32 v2, v2
	s_sub_i32 s4, 0, s80
	s_ashr_i32 s3, s31, 31
	v_rcp_iflag_f32_e32 v3, v3
	v_mul_lo_u32 v4, s4, v2
	v_mul_hi_u32 v4, v2, v4
	v_add_u32_e32 v9, v2, v4
	v_mul_f32_e32 v2, 0x4f7ffffe, v3
	v_cvt_u32_f32_e32 v2, v2
	v_cvt_f32_u32_e32 v3, s28
	s_sub_i32 s4, 0, s82
	s_mov_b32 s2, s31
	v_mul_lo_u32 v4, s4, v2
	v_rcp_iflag_f32_e32 v3, v3
	v_mul_hi_u32 v4, v2, v4
	v_add_u32_e32 v10, v2, v4
	v_rcp_iflag_f32_e32 v2, v5
	v_mul_f32_e32 v3, 0x4f7ffffe, v3
	v_cvt_u32_f32_e32 v3, v3
	s_sub_i32 s4, 0, s28
	v_mul_f32_e32 v2, 0x4f7ffffe, v2
	v_cvt_u32_f32_e32 v2, v2
	v_mul_lo_u32 v4, s4, v3
	v_mul_hi_u32 v4, v3, v4
	s_sub_i32 s4, 0, s85
	v_add_u32_e32 v11, v3, v4
	v_mul_lo_u32 v3, s4, v2
	v_mul_hi_u32 v3, v2, v3
	s_mov_b32 s36, 0
	s_mov_b64 s[64:65], 0
	s_ashr_i32 s81, s34, 31
	s_ashr_i32 s83, s39, 31
	;; [unrolled: 1-line block ×4, first 2 shown]
	v_add_u32_e32 v12, v2, v3
	s_waitcnt lgkmcnt(0)
	v_mov_b32_e32 v13, s67
	v_mov_b32_e32 v14, s59
	s_lshl_b64 s[68:69], s[2:3], 2
	s_lshl_b64 s[70:71], s[0:1], 2
	s_branch .LBB3_3
.LBB3_2:                                ;   in Loop: Header=BB3_3 Depth=1
	v_mul_lo_u32 v4, v18, s35
	v_ashrrev_i32_e32 v5, 31, v4
	v_lshlrev_b64 v[4:5], 2, v[4:5]
	v_mov_b32_e32 v3, s61
	v_add_co_u32_e32 v4, vcc, s60, v4
	v_mul_lo_u32 v2, s48, v2
	v_addc_co_u32_e32 v5, vcc, v3, v5, vcc
	v_ashrrev_i32_e32 v3, 31, v2
	v_lshlrev_b64 v[2:3], 2, v[2:3]
	v_add_co_u32_e32 v4, vcc, v4, v2
	v_mul_lo_u32 v2, s49, v17
	v_addc_co_u32_e32 v5, vcc, v5, v3, vcc
	v_ashrrev_i32_e32 v3, 31, v2
	v_lshlrev_b64 v[2:3], 2, v[2:3]
	;; [unrolled: 5-line block ×4, first 2 shown]
	v_add_co_u32_e32 v2, vcc, v4, v2
	v_addc_co_u32_e32 v3, vcc, v5, v3, vcc
	v_mov_b32_e32 v4, s36
	v_add_co_u32_e32 v0, vcc, s79, v0
	v_addc_co_u32_e32 v1, vcc, v1, v4, vcc
	v_mov_b32_e32 v5, s74
	v_add_co_u32_e32 v4, vcc, s75, v0
	v_addc_co_u32_e32 v5, vcc, v5, v1, vcc
	v_cmp_le_i64_e32 vcc, s[52:53], v[4:5]
	s_or_b64 s[64:65], vcc, s[64:65]
	global_store_dword v[2:3], v19, off
	s_andn2_b64 exec, exec, s[64:65]
	s_cbranch_execz .LBB3_59
.LBB3_3:                                ; =>This Inner Loop Header: Depth=1
	v_add_u32_e32 v2, s75, v0
	v_sub_u32_e32 v4, 0, v2
	v_max_i32_e32 v4, v2, v4
	v_mul_hi_u32 v5, v4, v8
	v_mul_lo_u32 v6, v5, s78
	v_sub_u32_e32 v4, v4, v6
	v_add_u32_e32 v6, 1, v5
	v_cmp_le_u32_e32 vcc, s78, v4
	v_cndmask_b32_e32 v5, v5, v6, vcc
	v_subrev_u32_e32 v6, s78, v4
	v_cndmask_b32_e32 v4, v4, v6, vcc
	v_ashrrev_i32_e32 v3, 31, v2
	v_add_u32_e32 v6, 1, v5
	v_cmp_le_u32_e32 vcc, s78, v4
	v_xor_b32_e32 v3, s81, v3
	v_cndmask_b32_e32 v4, v5, v6, vcc
	v_xor_b32_e32 v4, v4, v3
	v_sub_u32_e32 v3, v4, v3
	v_mul_lo_u32 v4, v3, s34
	v_sub_u32_e32 v15, v2, v4
	v_sub_u32_e32 v4, 0, v3
	v_max_i32_e32 v4, v3, v4
	v_mul_hi_u32 v5, v4, v9
	v_mul_lo_u32 v6, v5, s80
	v_sub_u32_e32 v4, v4, v6
	v_add_u32_e32 v6, 1, v5
	v_cmp_le_u32_e32 vcc, s80, v4
	v_cndmask_b32_e32 v5, v5, v6, vcc
	v_subrev_u32_e32 v6, s80, v4
	v_cndmask_b32_e32 v4, v4, v6, vcc
	v_ashrrev_i32_e32 v2, 31, v3
	v_add_u32_e32 v6, 1, v5
	v_cmp_le_u32_e32 vcc, s80, v4
	v_xor_b32_e32 v2, s83, v2
	v_cndmask_b32_e32 v4, v5, v6, vcc
	v_xor_b32_e32 v4, v4, v2
	v_sub_u32_e32 v2, v4, v2
	v_mul_lo_u32 v4, v2, s39
	v_sub_u32_e32 v16, v3, v4
	;; [unrolled: 19-line block ×4, first 2 shown]
	v_sub_u32_e32 v5, 0, v2
	v_max_i32_e32 v5, v2, v5
	v_mul_hi_u32 v6, v5, v12
	v_mul_lo_u32 v7, v6, s85
	v_sub_u32_e32 v5, v5, v7
	v_add_u32_e32 v7, 1, v6
	v_cmp_le_u32_e32 vcc, s85, v5
	v_cndmask_b32_e32 v6, v6, v7, vcc
	v_subrev_u32_e32 v7, s85, v5
	v_cndmask_b32_e32 v5, v5, v7, vcc
	v_ashrrev_i32_e32 v3, 31, v2
	v_add_u32_e32 v7, 1, v6
	v_cmp_le_u32_e32 vcc, s85, v5
	v_xor_b32_e32 v4, s86, v3
	v_cndmask_b32_e32 v5, v6, v7, vcc
	v_xor_b32_e32 v5, v5, v4
	v_sub_u32_e32 v19, v5, v4
	v_mul_lo_u32 v4, v15, s42
	v_subrev_u32_e32 v22, s55, v4
	v_mul_lo_u32 v4, v16, s41
	v_subrev_u32_e32 v21, s54, v4
	;; [unrolled: 2-line block ×3, first 2 shown]
	v_mul_lo_u32 v4, s76, v2
	v_ashrrev_i32_e32 v5, 31, v4
	v_lshlrev_b64 v[4:5], 2, v[4:5]
	v_mul_lo_u32 v6, s44, v18
	v_add_co_u32_e32 v4, vcc, s66, v4
	v_ashrrev_i32_e32 v7, 31, v6
	v_addc_co_u32_e32 v5, vcc, v13, v5, vcc
	v_lshlrev_b64 v[6:7], 2, v[6:7]
	v_add_co_u32_e32 v23, vcc, s58, v6
	v_mul_lo_u32 v6, s45, v19
	v_addc_co_u32_e32 v24, vcc, v14, v7, vcc
	v_ashrrev_i32_e32 v7, 31, v6
	v_lshlrev_b64 v[6:7], 2, v[6:7]
	v_add_co_u32_e32 v19, vcc, v23, v6
	v_mul_lo_u32 v6, s46, v20
	v_addc_co_u32_e32 v23, vcc, v24, v7, vcc
	v_ashrrev_i32_e32 v7, 31, v6
	;; [unrolled: 5-line block ×4, first 2 shown]
	v_lshlrev_b64 v[6:7], 2, v[6:7]
	v_add_co_u32_e32 v6, vcc, v19, v6
	v_addc_co_u32_e32 v7, vcc, v23, v7, vcc
	v_cmp_lt_i32_e64 s[14:15], -1, v20
	v_cmp_lt_i32_e64 s[16:17], -1, v21
	s_and_b64 s[8:9], s[14:15], s[16:17]
	v_cmp_lt_i32_e32 vcc, -1, v22
	v_cmp_gt_i32_e64 s[22:23], s29, v20
	s_and_b64 s[0:1], s[8:9], vcc
	v_cmp_gt_i32_e64 s[10:11], s30, v21
	s_and_b64 s[0:1], s[0:1], s[22:23]
	s_and_b64 s[2:3], s[0:1], s[10:11]
	v_cmp_gt_i32_e64 s[0:1], s31, v22
	s_and_b64 s[4:5], s[2:3], s[0:1]
	v_mov_b32_e32 v19, 0
	s_and_saveexec_b64 s[2:3], s[4:5]
	s_cbranch_execz .LBB3_5
; %bb.4:                                ;   in Loop: Header=BB3_3 Depth=1
	global_load_dword v19, v[4:5], off
	global_load_dword v23, v[6:7], off
	s_waitcnt vmcnt(0)
	v_fma_f32 v19, v19, v23, 0
.LBB3_5:                                ;   in Loop: Header=BB3_3 Depth=1
	s_or_b64 exec, exec, s[2:3]
	v_cmp_lt_i32_e64 s[2:3], -2, v22
	s_and_b64 s[4:5], s[8:9], s[2:3]
	v_add_u32_e32 v23, 1, v22
	s_and_b64 s[4:5], s[4:5], s[22:23]
	s_and_b64 s[6:7], s[4:5], s[10:11]
	v_cmp_gt_i32_e64 s[4:5], s31, v23
	s_and_b64 s[12:13], s[6:7], s[4:5]
	s_and_saveexec_b64 s[6:7], s[12:13]
	s_cbranch_execz .LBB3_7
; %bb.6:                                ;   in Loop: Header=BB3_3 Depth=1
	global_load_dword v23, v[4:5], off offset:4
	global_load_dword v24, v[6:7], off offset:4
	s_waitcnt vmcnt(0)
	v_fmac_f32_e32 v19, v23, v24
.LBB3_7:                                ;   in Loop: Header=BB3_3 Depth=1
	s_or_b64 exec, exec, s[6:7]
	v_cmp_lt_i32_e64 s[6:7], -3, v22
	s_and_b64 s[8:9], s[8:9], s[6:7]
	v_add_u32_e32 v23, 2, v22
	s_and_b64 s[8:9], s[8:9], s[22:23]
	s_and_b64 s[12:13], s[8:9], s[10:11]
	v_cmp_gt_i32_e64 s[8:9], s31, v23
	s_and_b64 s[18:19], s[12:13], s[8:9]
	s_and_saveexec_b64 s[12:13], s[18:19]
	s_cbranch_execz .LBB3_9
; %bb.8:                                ;   in Loop: Header=BB3_3 Depth=1
	global_load_dword v22, v[4:5], off offset:8
	global_load_dword v23, v[6:7], off offset:8
	s_waitcnt vmcnt(0)
	v_fmac_f32_e32 v19, v22, v23
.LBB3_9:                                ;   in Loop: Header=BB3_3 Depth=1
	s_or_b64 exec, exec, s[12:13]
	v_cmp_lt_i32_e64 s[18:19], -2, v21
	v_mov_b32_e32 v22, s69
	v_add_co_u32_e64 v6, s[12:13], s68, v6
	s_and_b64 s[20:21], s[14:15], s[18:19]
	v_addc_co_u32_e64 v7, s[12:13], v7, v22, s[12:13]
	v_add_u32_e32 v22, 1, v21
	s_and_b64 s[24:25], s[20:21], vcc
	v_cmp_gt_i32_e64 s[12:13], s30, v22
	s_and_b64 s[24:25], s[24:25], s[22:23]
	s_and_b64 s[24:25], s[24:25], s[12:13]
	;; [unrolled: 1-line block ×3, first 2 shown]
	s_and_saveexec_b64 s[24:25], s[26:27]
	s_cbranch_execz .LBB3_11
; %bb.10:                               ;   in Loop: Header=BB3_3 Depth=1
	global_load_dword v22, v[4:5], off offset:12
	global_load_dword v23, v[6:7], off
	s_waitcnt vmcnt(0)
	v_fmac_f32_e32 v19, v22, v23
.LBB3_11:                               ;   in Loop: Header=BB3_3 Depth=1
	s_or_b64 exec, exec, s[24:25]
	s_and_b64 s[24:25], s[20:21], s[2:3]
	s_and_b64 s[24:25], s[24:25], s[22:23]
	;; [unrolled: 1-line block ×4, first 2 shown]
	s_and_saveexec_b64 s[24:25], s[26:27]
	s_cbranch_execz .LBB3_13
; %bb.12:                               ;   in Loop: Header=BB3_3 Depth=1
	global_load_dword v22, v[4:5], off offset:16
	global_load_dword v23, v[6:7], off offset:4
	s_waitcnt vmcnt(0)
	v_fmac_f32_e32 v19, v22, v23
.LBB3_13:                               ;   in Loop: Header=BB3_3 Depth=1
	s_or_b64 exec, exec, s[24:25]
	s_and_b64 s[20:21], s[20:21], s[6:7]
	s_and_b64 s[20:21], s[20:21], s[22:23]
	;; [unrolled: 1-line block ×4, first 2 shown]
	s_and_saveexec_b64 s[20:21], s[24:25]
	s_cbranch_execz .LBB3_15
; %bb.14:                               ;   in Loop: Header=BB3_3 Depth=1
	global_load_dword v22, v[4:5], off offset:20
	global_load_dword v23, v[6:7], off offset:8
	s_waitcnt vmcnt(0)
	v_fmac_f32_e32 v19, v22, v23
.LBB3_15:                               ;   in Loop: Header=BB3_3 Depth=1
	s_or_b64 exec, exec, s[20:21]
	v_mov_b32_e32 v22, s69
	v_add_co_u32_e64 v6, s[20:21], s68, v6
	v_addc_co_u32_e64 v7, s[20:21], v7, v22, s[20:21]
	v_cmp_lt_i32_e64 s[20:21], -3, v21
	s_and_b64 s[24:25], s[14:15], s[20:21]
	v_add_u32_e32 v22, 2, v21
	s_and_b64 s[26:27], s[24:25], vcc
	v_cmp_gt_i32_e64 s[14:15], s30, v22
	s_and_b64 s[26:27], s[26:27], s[22:23]
	s_and_b64 s[26:27], s[26:27], s[14:15]
	;; [unrolled: 1-line block ×3, first 2 shown]
	s_and_saveexec_b64 s[26:27], s[72:73]
	s_cbranch_execz .LBB3_17
; %bb.16:                               ;   in Loop: Header=BB3_3 Depth=1
	global_load_dword v21, v[4:5], off offset:24
	global_load_dword v22, v[6:7], off
	s_waitcnt vmcnt(0)
	v_fmac_f32_e32 v19, v21, v22
.LBB3_17:                               ;   in Loop: Header=BB3_3 Depth=1
	s_or_b64 exec, exec, s[26:27]
	s_and_b64 s[26:27], s[24:25], s[2:3]
	s_and_b64 s[26:27], s[26:27], s[22:23]
	;; [unrolled: 1-line block ×4, first 2 shown]
	s_and_saveexec_b64 s[26:27], s[72:73]
	s_cbranch_execz .LBB3_19
; %bb.18:                               ;   in Loop: Header=BB3_3 Depth=1
	global_load_dword v21, v[4:5], off offset:28
	global_load_dword v22, v[6:7], off offset:4
	s_waitcnt vmcnt(0)
	v_fmac_f32_e32 v19, v21, v22
.LBB3_19:                               ;   in Loop: Header=BB3_3 Depth=1
	s_or_b64 exec, exec, s[26:27]
	s_and_b64 s[24:25], s[24:25], s[6:7]
	s_and_b64 s[22:23], s[24:25], s[22:23]
	;; [unrolled: 1-line block ×4, first 2 shown]
	s_and_saveexec_b64 s[22:23], s[24:25]
	s_cbranch_execz .LBB3_21
; %bb.20:                               ;   in Loop: Header=BB3_3 Depth=1
	global_load_dword v21, v[4:5], off offset:32
	global_load_dword v22, v[6:7], off offset:8
	s_waitcnt vmcnt(0)
	v_fmac_f32_e32 v19, v21, v22
.LBB3_21:                               ;   in Loop: Header=BB3_3 Depth=1
	s_or_b64 exec, exec, s[22:23]
	s_add_u32 s22, s70, s68
	s_addc_u32 s23, s71, s69
	v_mov_b32_e32 v21, s23
	v_add_co_u32_e64 v6, s[22:23], s22, v6
	v_cmp_lt_i32_e64 s[24:25], -2, v20
	v_addc_co_u32_e64 v7, s[22:23], v21, v7, s[22:23]
	v_add_u32_e32 v21, 1, v20
	s_and_b64 s[26:27], s[24:25], s[16:17]
	v_cmp_gt_i32_e64 s[22:23], s29, v21
	s_and_b64 s[72:73], s[26:27], vcc
	s_and_b64 s[72:73], s[72:73], s[22:23]
	s_and_b64 s[72:73], s[72:73], s[10:11]
	;; [unrolled: 1-line block ×3, first 2 shown]
	s_and_saveexec_b64 s[72:73], s[88:89]
	s_cbranch_execz .LBB3_23
; %bb.22:                               ;   in Loop: Header=BB3_3 Depth=1
	global_load_dword v21, v[4:5], off offset:36
	global_load_dword v22, v[6:7], off
	s_waitcnt vmcnt(0)
	v_fmac_f32_e32 v19, v21, v22
.LBB3_23:                               ;   in Loop: Header=BB3_3 Depth=1
	s_or_b64 exec, exec, s[72:73]
	s_and_b64 s[72:73], s[26:27], s[2:3]
	s_and_b64 s[72:73], s[72:73], s[22:23]
	;; [unrolled: 1-line block ×4, first 2 shown]
	s_and_saveexec_b64 s[72:73], s[88:89]
	s_cbranch_execz .LBB3_25
; %bb.24:                               ;   in Loop: Header=BB3_3 Depth=1
	global_load_dword v21, v[4:5], off offset:40
	global_load_dword v22, v[6:7], off offset:4
	s_waitcnt vmcnt(0)
	v_fmac_f32_e32 v19, v21, v22
.LBB3_25:                               ;   in Loop: Header=BB3_3 Depth=1
	s_or_b64 exec, exec, s[72:73]
	s_and_b64 s[26:27], s[26:27], s[6:7]
	s_and_b64 s[26:27], s[26:27], s[22:23]
	;; [unrolled: 1-line block ×4, first 2 shown]
	s_and_saveexec_b64 s[26:27], s[72:73]
	s_cbranch_execz .LBB3_27
; %bb.26:                               ;   in Loop: Header=BB3_3 Depth=1
	global_load_dword v21, v[4:5], off offset:44
	global_load_dword v22, v[6:7], off offset:8
	s_waitcnt vmcnt(0)
	v_fmac_f32_e32 v19, v21, v22
.LBB3_27:                               ;   in Loop: Header=BB3_3 Depth=1
	s_or_b64 exec, exec, s[26:27]
	v_mov_b32_e32 v21, s69
	v_add_co_u32_e64 v6, s[26:27], s68, v6
	v_addc_co_u32_e64 v7, s[26:27], v7, v21, s[26:27]
	s_and_b64 s[26:27], s[24:25], s[18:19]
	s_and_b64 s[72:73], s[26:27], vcc
	s_and_b64 s[72:73], s[72:73], s[22:23]
	s_and_b64 s[72:73], s[72:73], s[12:13]
	;; [unrolled: 1-line block ×3, first 2 shown]
	s_and_saveexec_b64 s[72:73], s[88:89]
	s_cbranch_execz .LBB3_29
; %bb.28:                               ;   in Loop: Header=BB3_3 Depth=1
	global_load_dword v21, v[4:5], off offset:48
	global_load_dword v22, v[6:7], off
	s_waitcnt vmcnt(0)
	v_fmac_f32_e32 v19, v21, v22
.LBB3_29:                               ;   in Loop: Header=BB3_3 Depth=1
	s_or_b64 exec, exec, s[72:73]
	s_and_b64 s[72:73], s[26:27], s[2:3]
	s_and_b64 s[72:73], s[72:73], s[22:23]
	;; [unrolled: 1-line block ×4, first 2 shown]
	s_and_saveexec_b64 s[72:73], s[88:89]
	s_cbranch_execz .LBB3_31
; %bb.30:                               ;   in Loop: Header=BB3_3 Depth=1
	global_load_dword v21, v[4:5], off offset:52
	global_load_dword v22, v[6:7], off offset:4
	s_waitcnt vmcnt(0)
	v_fmac_f32_e32 v19, v21, v22
.LBB3_31:                               ;   in Loop: Header=BB3_3 Depth=1
	s_or_b64 exec, exec, s[72:73]
	s_and_b64 s[26:27], s[26:27], s[6:7]
	s_and_b64 s[26:27], s[26:27], s[22:23]
	;; [unrolled: 1-line block ×4, first 2 shown]
	s_and_saveexec_b64 s[26:27], s[72:73]
	s_cbranch_execz .LBB3_33
; %bb.32:                               ;   in Loop: Header=BB3_3 Depth=1
	global_load_dword v21, v[4:5], off offset:56
	global_load_dword v22, v[6:7], off offset:8
	s_waitcnt vmcnt(0)
	v_fmac_f32_e32 v19, v21, v22
.LBB3_33:                               ;   in Loop: Header=BB3_3 Depth=1
	s_or_b64 exec, exec, s[26:27]
	v_mov_b32_e32 v21, s69
	v_add_co_u32_e64 v6, s[26:27], s68, v6
	v_addc_co_u32_e64 v7, s[26:27], v7, v21, s[26:27]
	s_and_b64 s[24:25], s[24:25], s[20:21]
	s_and_b64 s[26:27], s[24:25], vcc
	s_and_b64 s[26:27], s[26:27], s[22:23]
	s_and_b64 s[26:27], s[26:27], s[14:15]
	;; [unrolled: 1-line block ×3, first 2 shown]
	s_and_saveexec_b64 s[26:27], s[72:73]
	s_cbranch_execz .LBB3_35
; %bb.34:                               ;   in Loop: Header=BB3_3 Depth=1
	global_load_dword v21, v[4:5], off offset:60
	global_load_dword v22, v[6:7], off
	s_waitcnt vmcnt(0)
	v_fmac_f32_e32 v19, v21, v22
.LBB3_35:                               ;   in Loop: Header=BB3_3 Depth=1
	s_or_b64 exec, exec, s[26:27]
	s_and_b64 s[26:27], s[24:25], s[2:3]
	s_and_b64 s[26:27], s[26:27], s[22:23]
	;; [unrolled: 1-line block ×4, first 2 shown]
	s_and_saveexec_b64 s[26:27], s[72:73]
	s_cbranch_execz .LBB3_37
; %bb.36:                               ;   in Loop: Header=BB3_3 Depth=1
	global_load_dword v21, v[4:5], off offset:64
	global_load_dword v22, v[6:7], off offset:4
	s_waitcnt vmcnt(0)
	v_fmac_f32_e32 v19, v21, v22
.LBB3_37:                               ;   in Loop: Header=BB3_3 Depth=1
	s_or_b64 exec, exec, s[26:27]
	s_and_b64 s[24:25], s[24:25], s[6:7]
	s_and_b64 s[22:23], s[24:25], s[22:23]
	;; [unrolled: 1-line block ×4, first 2 shown]
	s_and_saveexec_b64 s[22:23], s[24:25]
	s_cbranch_execz .LBB3_39
; %bb.38:                               ;   in Loop: Header=BB3_3 Depth=1
	global_load_dword v21, v[4:5], off offset:68
	global_load_dword v22, v[6:7], off offset:8
	s_waitcnt vmcnt(0)
	v_fmac_f32_e32 v19, v21, v22
.LBB3_39:                               ;   in Loop: Header=BB3_3 Depth=1
	s_or_b64 exec, exec, s[22:23]
	s_add_u32 s22, s70, s68
	s_addc_u32 s23, s71, s69
	v_mov_b32_e32 v21, s23
	v_add_co_u32_e64 v6, s[22:23], s22, v6
	v_cmp_lt_i32_e64 s[24:25], -3, v20
	v_addc_co_u32_e64 v7, s[22:23], v21, v7, s[22:23]
	v_add_u32_e32 v21, 2, v20
	s_and_b64 s[16:17], s[24:25], s[16:17]
	v_cmp_gt_i32_e64 s[22:23], s29, v21
	s_and_b64 s[26:27], s[16:17], vcc
	s_and_b64 s[26:27], s[26:27], s[22:23]
	s_and_b64 s[26:27], s[26:27], s[10:11]
	;; [unrolled: 1-line block ×3, first 2 shown]
	s_and_saveexec_b64 s[26:27], s[72:73]
	s_cbranch_execz .LBB3_41
; %bb.40:                               ;   in Loop: Header=BB3_3 Depth=1
	global_load_dword v20, v[4:5], off offset:72
	global_load_dword v21, v[6:7], off
	s_waitcnt vmcnt(0)
	v_fmac_f32_e32 v19, v20, v21
.LBB3_41:                               ;   in Loop: Header=BB3_3 Depth=1
	s_or_b64 exec, exec, s[26:27]
	s_and_b64 s[26:27], s[16:17], s[2:3]
	s_and_b64 s[26:27], s[26:27], s[22:23]
	;; [unrolled: 1-line block ×4, first 2 shown]
	s_and_saveexec_b64 s[26:27], s[72:73]
	s_cbranch_execz .LBB3_43
; %bb.42:                               ;   in Loop: Header=BB3_3 Depth=1
	global_load_dword v20, v[4:5], off offset:76
	global_load_dword v21, v[6:7], off offset:4
	s_waitcnt vmcnt(0)
	v_fmac_f32_e32 v19, v20, v21
.LBB3_43:                               ;   in Loop: Header=BB3_3 Depth=1
	s_or_b64 exec, exec, s[26:27]
	s_and_b64 s[16:17], s[16:17], s[6:7]
	s_and_b64 s[16:17], s[16:17], s[22:23]
	;; [unrolled: 1-line block ×4, first 2 shown]
	s_and_saveexec_b64 s[10:11], s[16:17]
	s_cbranch_execz .LBB3_45
; %bb.44:                               ;   in Loop: Header=BB3_3 Depth=1
	global_load_dword v20, v[4:5], off offset:80
	global_load_dword v21, v[6:7], off offset:8
	s_waitcnt vmcnt(0)
	v_fmac_f32_e32 v19, v20, v21
.LBB3_45:                               ;   in Loop: Header=BB3_3 Depth=1
	s_or_b64 exec, exec, s[10:11]
	v_mov_b32_e32 v20, s69
	v_add_co_u32_e64 v6, s[10:11], s68, v6
	v_addc_co_u32_e64 v7, s[10:11], v7, v20, s[10:11]
	s_and_b64 s[10:11], s[24:25], s[18:19]
	s_and_b64 s[16:17], s[10:11], vcc
	s_and_b64 s[16:17], s[16:17], s[22:23]
	s_and_b64 s[16:17], s[16:17], s[12:13]
	;; [unrolled: 1-line block ×3, first 2 shown]
	s_and_saveexec_b64 s[16:17], s[18:19]
	s_cbranch_execz .LBB3_47
; %bb.46:                               ;   in Loop: Header=BB3_3 Depth=1
	global_load_dword v20, v[4:5], off offset:84
	global_load_dword v21, v[6:7], off
	s_waitcnt vmcnt(0)
	v_fmac_f32_e32 v19, v20, v21
.LBB3_47:                               ;   in Loop: Header=BB3_3 Depth=1
	s_or_b64 exec, exec, s[16:17]
	s_and_b64 s[16:17], s[10:11], s[2:3]
	s_and_b64 s[16:17], s[16:17], s[22:23]
	;; [unrolled: 1-line block ×4, first 2 shown]
	s_and_saveexec_b64 s[16:17], s[18:19]
	s_cbranch_execz .LBB3_49
; %bb.48:                               ;   in Loop: Header=BB3_3 Depth=1
	global_load_dword v20, v[4:5], off offset:88
	global_load_dword v21, v[6:7], off offset:4
	s_waitcnt vmcnt(0)
	v_fmac_f32_e32 v19, v20, v21
.LBB3_49:                               ;   in Loop: Header=BB3_3 Depth=1
	s_or_b64 exec, exec, s[16:17]
	s_and_b64 s[10:11], s[10:11], s[6:7]
	s_and_b64 s[10:11], s[10:11], s[22:23]
	;; [unrolled: 1-line block ×4, first 2 shown]
	s_and_saveexec_b64 s[10:11], s[12:13]
	s_cbranch_execz .LBB3_51
; %bb.50:                               ;   in Loop: Header=BB3_3 Depth=1
	global_load_dword v20, v[4:5], off offset:92
	global_load_dword v21, v[6:7], off offset:8
	s_waitcnt vmcnt(0)
	v_fmac_f32_e32 v19, v20, v21
.LBB3_51:                               ;   in Loop: Header=BB3_3 Depth=1
	s_or_b64 exec, exec, s[10:11]
	v_mov_b32_e32 v20, s69
	v_add_co_u32_e64 v6, s[10:11], s68, v6
	v_addc_co_u32_e64 v7, s[10:11], v7, v20, s[10:11]
	s_and_b64 s[10:11], s[24:25], s[20:21]
	s_and_b64 s[12:13], s[10:11], vcc
	s_and_b64 s[12:13], s[12:13], s[22:23]
	s_and_b64 s[12:13], s[12:13], s[14:15]
	;; [unrolled: 1-line block ×3, first 2 shown]
	s_and_saveexec_b64 s[0:1], s[12:13]
	s_cbranch_execz .LBB3_53
; %bb.52:                               ;   in Loop: Header=BB3_3 Depth=1
	global_load_dword v20, v[4:5], off offset:96
	global_load_dword v21, v[6:7], off
	s_waitcnt vmcnt(0)
	v_fmac_f32_e32 v19, v20, v21
.LBB3_53:                               ;   in Loop: Header=BB3_3 Depth=1
	s_or_b64 exec, exec, s[0:1]
	s_and_b64 s[0:1], s[10:11], s[2:3]
	s_and_b64 s[0:1], s[0:1], s[22:23]
	s_and_b64 s[0:1], s[0:1], s[14:15]
	s_and_b64 s[2:3], s[0:1], s[4:5]
	s_and_saveexec_b64 s[0:1], s[2:3]
	s_cbranch_execz .LBB3_55
; %bb.54:                               ;   in Loop: Header=BB3_3 Depth=1
	global_load_dword v20, v[4:5], off offset:100
	global_load_dword v21, v[6:7], off offset:4
	s_waitcnt vmcnt(0)
	v_fmac_f32_e32 v19, v20, v21
.LBB3_55:                               ;   in Loop: Header=BB3_3 Depth=1
	s_or_b64 exec, exec, s[0:1]
	s_and_b64 s[0:1], s[10:11], s[6:7]
	s_and_b64 s[0:1], s[0:1], s[22:23]
	s_and_b64 s[0:1], s[0:1], s[14:15]
	s_and_b64 s[2:3], s[0:1], s[8:9]
	s_and_saveexec_b64 s[0:1], s[2:3]
	s_cbranch_execz .LBB3_57
; %bb.56:                               ;   in Loop: Header=BB3_3 Depth=1
	global_load_dword v4, v[4:5], off offset:104
	s_nop 0
	global_load_dword v5, v[6:7], off offset:8
	s_waitcnt vmcnt(0)
	v_fmac_f32_e32 v19, v4, v5
.LBB3_57:                               ;   in Loop: Header=BB3_3 Depth=1
	s_or_b64 exec, exec, s[0:1]
	s_andn2_b64 vcc, exec, s[62:63]
	s_cbranch_vccnz .LBB3_2
; %bb.58:                               ;   in Loop: Header=BB3_3 Depth=1
	v_lshlrev_b64 v[4:5], 2, v[2:3]
	v_mov_b32_e32 v3, s57
	v_add_co_u32_e32 v4, vcc, s56, v4
	v_addc_co_u32_e32 v5, vcc, v3, v5, vcc
	global_load_dword v3, v[4:5], off
	s_waitcnt vmcnt(0)
	v_add_f32_e32 v19, v19, v3
	s_branch .LBB3_2
.LBB3_59:
	s_endpgm
	.section	.rodata,"a",@progbits
	.p2align	6, 0x0
	.amdhsa_kernel _ZN2at6native12_GLOBAL__N_128conv_depthwise3d_cuda_kernelIffLi3ELi3ELi3ELi1ELi1ELi1EEEvN5torch10headeronly6detail27GenericPackedTensorAccessorINS5_14TensorAccessorIN3c108ArrayRefIlEEKT_Lm4ENS4_16DefaultPtrTraitsEiEENS_6detail16IndexBoundsCheckILm5EiEESC_Lm5ESD_iEENS6_INS7_ISA_SB_Lm4ESD_iEESH_SB_Lm5ESD_iEESI_PSC_iiiiiiiii
		.amdhsa_group_segment_fixed_size 0
		.amdhsa_private_segment_fixed_size 0
		.amdhsa_kernarg_size 448
		.amdhsa_user_sgpr_count 6
		.amdhsa_user_sgpr_private_segment_buffer 1
		.amdhsa_user_sgpr_dispatch_ptr 0
		.amdhsa_user_sgpr_queue_ptr 0
		.amdhsa_user_sgpr_kernarg_segment_ptr 1
		.amdhsa_user_sgpr_dispatch_id 0
		.amdhsa_user_sgpr_flat_scratch_init 0
		.amdhsa_user_sgpr_kernarg_preload_length 0
		.amdhsa_user_sgpr_kernarg_preload_offset 0
		.amdhsa_user_sgpr_private_segment_size 0
		.amdhsa_uses_dynamic_stack 0
		.amdhsa_system_sgpr_private_segment_wavefront_offset 0
		.amdhsa_system_sgpr_workgroup_id_x 1
		.amdhsa_system_sgpr_workgroup_id_y 0
		.amdhsa_system_sgpr_workgroup_id_z 0
		.amdhsa_system_sgpr_workgroup_info 0
		.amdhsa_system_vgpr_workitem_id 0
		.amdhsa_next_free_vgpr 25
		.amdhsa_next_free_sgpr 90
		.amdhsa_accum_offset 28
		.amdhsa_reserve_vcc 1
		.amdhsa_reserve_flat_scratch 0
		.amdhsa_float_round_mode_32 0
		.amdhsa_float_round_mode_16_64 0
		.amdhsa_float_denorm_mode_32 3
		.amdhsa_float_denorm_mode_16_64 3
		.amdhsa_dx10_clamp 1
		.amdhsa_ieee_mode 1
		.amdhsa_fp16_overflow 0
		.amdhsa_tg_split 0
		.amdhsa_exception_fp_ieee_invalid_op 0
		.amdhsa_exception_fp_denorm_src 0
		.amdhsa_exception_fp_ieee_div_zero 0
		.amdhsa_exception_fp_ieee_overflow 0
		.amdhsa_exception_fp_ieee_underflow 0
		.amdhsa_exception_fp_ieee_inexact 0
		.amdhsa_exception_int_div_zero 0
	.end_amdhsa_kernel
	.section	.text._ZN2at6native12_GLOBAL__N_128conv_depthwise3d_cuda_kernelIffLi3ELi3ELi3ELi1ELi1ELi1EEEvN5torch10headeronly6detail27GenericPackedTensorAccessorINS5_14TensorAccessorIN3c108ArrayRefIlEEKT_Lm4ENS4_16DefaultPtrTraitsEiEENS_6detail16IndexBoundsCheckILm5EiEESC_Lm5ESD_iEENS6_INS7_ISA_SB_Lm4ESD_iEESH_SB_Lm5ESD_iEESI_PSC_iiiiiiiii,"axG",@progbits,_ZN2at6native12_GLOBAL__N_128conv_depthwise3d_cuda_kernelIffLi3ELi3ELi3ELi1ELi1ELi1EEEvN5torch10headeronly6detail27GenericPackedTensorAccessorINS5_14TensorAccessorIN3c108ArrayRefIlEEKT_Lm4ENS4_16DefaultPtrTraitsEiEENS_6detail16IndexBoundsCheckILm5EiEESC_Lm5ESD_iEENS6_INS7_ISA_SB_Lm4ESD_iEESH_SB_Lm5ESD_iEESI_PSC_iiiiiiiii,comdat
.Lfunc_end3:
	.size	_ZN2at6native12_GLOBAL__N_128conv_depthwise3d_cuda_kernelIffLi3ELi3ELi3ELi1ELi1ELi1EEEvN5torch10headeronly6detail27GenericPackedTensorAccessorINS5_14TensorAccessorIN3c108ArrayRefIlEEKT_Lm4ENS4_16DefaultPtrTraitsEiEENS_6detail16IndexBoundsCheckILm5EiEESC_Lm5ESD_iEENS6_INS7_ISA_SB_Lm4ESD_iEESH_SB_Lm5ESD_iEESI_PSC_iiiiiiiii, .Lfunc_end3-_ZN2at6native12_GLOBAL__N_128conv_depthwise3d_cuda_kernelIffLi3ELi3ELi3ELi1ELi1ELi1EEEvN5torch10headeronly6detail27GenericPackedTensorAccessorINS5_14TensorAccessorIN3c108ArrayRefIlEEKT_Lm4ENS4_16DefaultPtrTraitsEiEENS_6detail16IndexBoundsCheckILm5EiEESC_Lm5ESD_iEENS6_INS7_ISA_SB_Lm4ESD_iEESH_SB_Lm5ESD_iEESI_PSC_iiiiiiiii
                                        ; -- End function
	.section	.AMDGPU.csdata,"",@progbits
; Kernel info:
; codeLenInByte = 3292
; NumSgprs: 94
; NumVgprs: 25
; NumAgprs: 0
; TotalNumVgprs: 25
; ScratchSize: 0
; MemoryBound: 0
; FloatMode: 240
; IeeeMode: 1
; LDSByteSize: 0 bytes/workgroup (compile time only)
; SGPRBlocks: 11
; VGPRBlocks: 3
; NumSGPRsForWavesPerEU: 94
; NumVGPRsForWavesPerEU: 25
; AccumOffset: 28
; Occupancy: 8
; WaveLimiterHint : 0
; COMPUTE_PGM_RSRC2:SCRATCH_EN: 0
; COMPUTE_PGM_RSRC2:USER_SGPR: 6
; COMPUTE_PGM_RSRC2:TRAP_HANDLER: 0
; COMPUTE_PGM_RSRC2:TGID_X_EN: 1
; COMPUTE_PGM_RSRC2:TGID_Y_EN: 0
; COMPUTE_PGM_RSRC2:TGID_Z_EN: 0
; COMPUTE_PGM_RSRC2:TIDIG_COMP_CNT: 0
; COMPUTE_PGM_RSRC3_GFX90A:ACCUM_OFFSET: 6
; COMPUTE_PGM_RSRC3_GFX90A:TG_SPLIT: 0
	.section	.text._ZN2at6native12_GLOBAL__N_128conv_depthwise3d_cuda_kernelIffLin1ELin1ELin1ELi1ELi1ELi1EEEvN5torch10headeronly6detail27GenericPackedTensorAccessorINS5_14TensorAccessorIN3c108ArrayRefIlEEKT_Lm4ENS4_16DefaultPtrTraitsEiEENS_6detail16IndexBoundsCheckILm5EiEESC_Lm5ESD_iEENS6_INS7_ISA_SB_Lm4ESD_iEESH_SB_Lm5ESD_iEESI_PSC_iiiiiiiii,"axG",@progbits,_ZN2at6native12_GLOBAL__N_128conv_depthwise3d_cuda_kernelIffLin1ELin1ELin1ELi1ELi1ELi1EEEvN5torch10headeronly6detail27GenericPackedTensorAccessorINS5_14TensorAccessorIN3c108ArrayRefIlEEKT_Lm4ENS4_16DefaultPtrTraitsEiEENS_6detail16IndexBoundsCheckILm5EiEESC_Lm5ESD_iEENS6_INS7_ISA_SB_Lm4ESD_iEESH_SB_Lm5ESD_iEESI_PSC_iiiiiiiii,comdat
	.globl	_ZN2at6native12_GLOBAL__N_128conv_depthwise3d_cuda_kernelIffLin1ELin1ELin1ELi1ELi1ELi1EEEvN5torch10headeronly6detail27GenericPackedTensorAccessorINS5_14TensorAccessorIN3c108ArrayRefIlEEKT_Lm4ENS4_16DefaultPtrTraitsEiEENS_6detail16IndexBoundsCheckILm5EiEESC_Lm5ESD_iEENS6_INS7_ISA_SB_Lm4ESD_iEESH_SB_Lm5ESD_iEESI_PSC_iiiiiiiii ; -- Begin function _ZN2at6native12_GLOBAL__N_128conv_depthwise3d_cuda_kernelIffLin1ELin1ELin1ELi1ELi1ELi1EEEvN5torch10headeronly6detail27GenericPackedTensorAccessorINS5_14TensorAccessorIN3c108ArrayRefIlEEKT_Lm4ENS4_16DefaultPtrTraitsEiEENS_6detail16IndexBoundsCheckILm5EiEESC_Lm5ESD_iEENS6_INS7_ISA_SB_Lm4ESD_iEESH_SB_Lm5ESD_iEESI_PSC_iiiiiiiii
	.p2align	8
	.type	_ZN2at6native12_GLOBAL__N_128conv_depthwise3d_cuda_kernelIffLin1ELin1ELin1ELi1ELi1ELi1EEEvN5torch10headeronly6detail27GenericPackedTensorAccessorINS5_14TensorAccessorIN3c108ArrayRefIlEEKT_Lm4ENS4_16DefaultPtrTraitsEiEENS_6detail16IndexBoundsCheckILm5EiEESC_Lm5ESD_iEENS6_INS7_ISA_SB_Lm4ESD_iEESH_SB_Lm5ESD_iEESI_PSC_iiiiiiiii,@function
_ZN2at6native12_GLOBAL__N_128conv_depthwise3d_cuda_kernelIffLin1ELin1ELin1ELi1ELi1ELi1EEEvN5torch10headeronly6detail27GenericPackedTensorAccessorINS5_14TensorAccessorIN3c108ArrayRefIlEEKT_Lm4ENS4_16DefaultPtrTraitsEiEENS_6detail16IndexBoundsCheckILm5EiEESC_Lm5ESD_iEENS6_INS7_ISA_SB_Lm4ESD_iEESH_SB_Lm5ESD_iEESI_PSC_iiiiiiiii: ; @_ZN2at6native12_GLOBAL__N_128conv_depthwise3d_cuda_kernelIffLin1ELin1ELin1ELi1ELi1ELi1EEEvN5torch10headeronly6detail27GenericPackedTensorAccessorINS5_14TensorAccessorIN3c108ArrayRefIlEEKT_Lm4ENS4_16DefaultPtrTraitsEiEENS_6detail16IndexBoundsCheckILm5EiEESC_Lm5ESD_iEENS6_INS7_ISA_SB_Lm4ESD_iEESH_SB_Lm5ESD_iEESI_PSC_iiiiiiiii
; %bb.0:
	s_load_dwordx4 s[8:11], s[4:5], 0xc
	s_load_dwordx4 s[12:15], s[4:5], 0x38
	s_load_dwordx2 s[34:35], s[4:5], 0x48
	s_load_dword s2, s[4:5], 0xcc
	v_mov_b32_e32 v1, 0
	s_waitcnt lgkmcnt(0)
	s_abs_i32 s3, s8
	v_cvt_f32_u32_e32 v2, s3
	s_add_u32 s0, s4, 0xc0
	v_mov_b32_e32 v3, s6
	s_mul_i32 s6, s35, s12
	v_rcp_iflag_f32_e32 v2, v2
	s_addc_u32 s1, s5, 0
	s_and_b32 s2, s2, 0xffff
	v_mad_u64_u32 v[0:1], s[16:17], s2, v3, v[0:1]
	v_mul_f32_e32 v2, 0x4f7ffffe, v2
	v_cvt_u32_f32_e32 v2, v2
	s_ashr_i32 s7, s6, 31
	v_cmp_gt_i64_e32 vcc, s[6:7], v[0:1]
	v_readfirstlane_b32 s16, v2
	s_and_saveexec_b64 s[18:19], vcc
	s_cbranch_execz .LBB4_17
; %bb.1:
	s_sub_i32 s17, 0, s3
	s_mul_i32 s17, s17, s16
	s_mul_hi_u32 s17, s16, s17
	s_ashr_i32 s20, s8, 31
	s_abs_i32 s8, s13
	s_add_i32 s16, s16, s17
	s_mul_hi_u32 s21, s8, s16
	s_mul_i32 s22, s21, s3
	s_ashr_i32 s12, s13, 31
	s_sub_i32 s22, s8, s22
	s_xor_b32 s20, s12, s20
	s_add_i32 s23, s21, 1
	s_sub_i32 s24, s22, s3
	s_cmp_ge_u32 s22, s3
	s_cselect_b32 s21, s23, s21
	s_cselect_b32 s22, s24, s22
	s_add_i32 s23, s21, 1
	s_cmp_ge_u32 s22, s3
	s_cselect_b32 s3, s23, s21
	s_xor_b32 s3, s3, s20
	s_load_dwordx2 s[36:37], s[4:5], 0x90
	s_load_dwordx4 s[16:19], s[4:5], 0x98
	s_load_dwordx2 s[38:39], s[4:5], 0xa8
	s_sub_i32 s3, s3, s20
	s_load_dwordx4 s[20:23], s[4:5], 0x70
	s_load_dword s56, s[0:1], 0x0
                                        ; kill: killed $sgpr0 killed $sgpr1
	s_waitcnt lgkmcnt(0)
	s_load_dword s23, s[4:5], 0x7c
	s_load_dwordx2 s[40:41], s[4:5], 0x0
	s_load_dwordx4 s[24:27], s[4:5], 0x1c
	s_load_dword s63, s[4:5], 0x2c
	s_load_dwordx2 s[50:51], s[4:5], 0x30
	s_mov_b32 s33, 0
	s_cmp_gt_i32 s20, 0
	s_cselect_b64 s[42:43], -1, 0
	s_cmp_gt_i32 s21, 0
	s_cselect_b64 s[44:45], -1, 0
	;; [unrolled: 2-line block ×3, first 2 shown]
	s_sub_i32 s28, s10, s21
	s_sub_i32 s0, s11, s22
	s_mul_i32 s58, s11, s28
	s_ashr_i32 s1, s0, 31
	s_ashr_i32 s59, s58, 31
	s_cmp_lg_u64 s[36:37], 0
	s_cselect_b64 s[48:49], -1, 0
	s_abs_i32 s62, s34
	v_cvt_f32_u32_e32 v2, s62
	s_abs_i32 s65, s15
	v_cvt_f32_u32_e32 v3, s65
	s_mul_i32 s64, s56, s2
	v_rcp_iflag_f32_e32 v2, v2
	s_sub_i32 s2, 0, s62
	v_rcp_iflag_f32_e32 v3, v3
	s_abs_i32 s67, s14
	v_mul_f32_e32 v2, 0x4f7ffffe, v2
	v_cvt_u32_f32_e32 v2, v2
	s_abs_i32 s70, s3
	v_cvt_f32_u32_e32 v5, s70
	s_load_dwordx2 s[54:55], s[4:5], 0x60
	s_load_dwordx4 s[28:31], s[4:5], 0x50
	v_mul_lo_u32 v4, s2, v2
	v_mul_hi_u32 v4, v2, v4
	v_add_u32_e32 v8, v2, v4
	v_mul_f32_e32 v2, 0x4f7ffffe, v3
	v_cvt_f32_u32_e32 v3, s67
	v_cvt_u32_f32_e32 v2, v2
	s_sub_i32 s2, 0, s65
	s_mov_b64 s[52:53], 0
	v_rcp_iflag_f32_e32 v3, v3
	v_mul_lo_u32 v4, s2, v2
	v_mul_hi_u32 v4, v2, v4
	v_add_u32_e32 v9, v2, v4
	v_mul_f32_e32 v2, 0x4f7ffffe, v3
	v_cvt_u32_f32_e32 v2, v2
	v_cvt_f32_u32_e32 v3, s8
	s_sub_i32 s2, 0, s67
	s_ashr_i32 s66, s34, 31
	v_mul_lo_u32 v4, s2, v2
	v_rcp_iflag_f32_e32 v3, v3
	v_mul_hi_u32 v4, v2, v4
	v_add_u32_e32 v10, v2, v4
	v_rcp_iflag_f32_e32 v2, v5
	v_mul_f32_e32 v3, 0x4f7ffffe, v3
	v_cvt_u32_f32_e32 v3, v3
	s_sub_i32 s2, 0, s8
	v_mul_f32_e32 v2, 0x4f7ffffe, v2
	v_cvt_u32_f32_e32 v2, v2
	v_mul_lo_u32 v4, s2, v3
	v_mul_hi_u32 v4, v3, v4
	s_sub_i32 s2, 0, s70
	v_add_u32_e32 v11, v3, v4
	v_mul_lo_u32 v3, s2, v2
	v_mul_hi_u32 v3, v2, v3
	s_ashr_i32 s68, s15, 31
	s_ashr_i32 s69, s14, 31
	;; [unrolled: 1-line block ×3, first 2 shown]
	v_add_u32_e32 v12, v2, v3
	s_lshl_b64 s[56:57], s[0:1], 2
	s_lshl_b64 s[58:59], s[58:59], 2
	s_branch .LBB4_3
.LBB4_2:                                ;   in Loop: Header=BB4_3 Depth=1
	v_mul_lo_u32 v4, v16, s35
	v_ashrrev_i32_e32 v5, 31, v4
	v_lshlrev_b64 v[4:5], 2, v[4:5]
	s_waitcnt lgkmcnt(0)
	v_mov_b32_e32 v3, s51
	v_add_co_u32_e32 v4, vcc, s50, v4
	v_mul_lo_u32 v2, s28, v2
	v_addc_co_u32_e32 v5, vcc, v3, v5, vcc
	v_ashrrev_i32_e32 v3, 31, v2
	v_lshlrev_b64 v[2:3], 2, v[2:3]
	v_add_co_u32_e32 v4, vcc, v4, v2
	v_mul_lo_u32 v2, s29, v15
	v_addc_co_u32_e32 v5, vcc, v5, v3, vcc
	v_ashrrev_i32_e32 v3, 31, v2
	v_lshlrev_b64 v[2:3], 2, v[2:3]
	;; [unrolled: 5-line block ×4, first 2 shown]
	v_add_co_u32_e32 v2, vcc, v4, v2
	v_addc_co_u32_e32 v3, vcc, v5, v3, vcc
	v_mov_b32_e32 v4, s33
	v_add_co_u32_e32 v0, vcc, s64, v0
	v_addc_co_u32_e32 v1, vcc, v1, v4, vcc
	v_cmp_le_i64_e32 vcc, s[6:7], v[0:1]
	s_or_b64 s[52:53], vcc, s[52:53]
	global_store_dword v[2:3], v17, off
	s_andn2_b64 exec, exec, s[52:53]
	s_cbranch_execz .LBB4_17
.LBB4_3:                                ; =>This Loop Header: Depth=1
                                        ;     Child Loop BB4_6 Depth 2
                                        ;       Child Loop BB4_9 Depth 3
                                        ;         Child Loop BB4_12 Depth 4
	v_sub_u32_e32 v3, 0, v0
	v_max_i32_e32 v3, v0, v3
	v_mul_hi_u32 v4, v3, v8
	v_mul_lo_u32 v5, v4, s62
	v_sub_u32_e32 v3, v3, v5
	v_add_u32_e32 v5, 1, v4
	v_cmp_le_u32_e32 vcc, s62, v3
	v_cndmask_b32_e32 v4, v4, v5, vcc
	v_subrev_u32_e32 v5, s62, v3
	v_cndmask_b32_e32 v3, v3, v5, vcc
	v_ashrrev_i32_e32 v2, 31, v0
	v_add_u32_e32 v5, 1, v4
	v_cmp_le_u32_e32 vcc, s62, v3
	v_xor_b32_e32 v2, s66, v2
	v_cndmask_b32_e32 v3, v4, v5, vcc
	v_xor_b32_e32 v3, v3, v2
	v_sub_u32_e32 v2, v3, v2
	v_sub_u32_e32 v4, 0, v2
	v_max_i32_e32 v4, v2, v4
	v_mul_hi_u32 v5, v4, v9
	v_mul_lo_u32 v6, v5, s65
	v_sub_u32_e32 v4, v4, v6
	v_add_u32_e32 v6, 1, v5
	v_cmp_le_u32_e32 vcc, s65, v4
	v_cndmask_b32_e32 v5, v5, v6, vcc
	v_subrev_u32_e32 v6, s65, v4
	v_mul_lo_u32 v3, v2, s34
	v_cndmask_b32_e32 v4, v4, v6, vcc
	v_sub_u32_e32 v13, v0, v3
	v_ashrrev_i32_e32 v3, 31, v2
	v_add_u32_e32 v6, 1, v5
	v_cmp_le_u32_e32 vcc, s65, v4
	v_xor_b32_e32 v3, s68, v3
	v_cndmask_b32_e32 v4, v5, v6, vcc
	v_xor_b32_e32 v4, v4, v3
	v_sub_u32_e32 v3, v4, v3
	v_mul_lo_u32 v4, v3, s15
	v_sub_u32_e32 v14, v2, v4
	v_sub_u32_e32 v4, 0, v3
	v_max_i32_e32 v4, v3, v4
	v_mul_hi_u32 v5, v4, v10
	v_mul_lo_u32 v6, v5, s67
	v_sub_u32_e32 v4, v4, v6
	v_add_u32_e32 v6, 1, v5
	v_cmp_le_u32_e32 vcc, s67, v4
	v_cndmask_b32_e32 v5, v5, v6, vcc
	v_subrev_u32_e32 v6, s67, v4
	v_cndmask_b32_e32 v4, v4, v6, vcc
	v_ashrrev_i32_e32 v2, 31, v3
	v_add_u32_e32 v6, 1, v5
	v_cmp_le_u32_e32 vcc, s67, v4
	v_xor_b32_e32 v2, s69, v2
	v_cndmask_b32_e32 v4, v5, v6, vcc
	v_xor_b32_e32 v4, v4, v2
	v_sub_u32_e32 v2, v4, v2
	v_mul_lo_u32 v4, v2, s14
	v_sub_u32_e32 v15, v3, v4
	v_sub_u32_e32 v4, 0, v2
	v_max_i32_e32 v4, v2, v4
	v_mul_hi_u32 v5, v4, v11
	v_mul_lo_u32 v6, v5, s8
	v_sub_u32_e32 v4, v4, v6
	v_add_u32_e32 v6, 1, v5
	v_cmp_le_u32_e32 vcc, s8, v4
	v_cndmask_b32_e32 v5, v5, v6, vcc
	v_subrev_u32_e32 v6, s8, v4
	v_cndmask_b32_e32 v4, v4, v6, vcc
	v_ashrrev_i32_e32 v3, 31, v2
	v_add_u32_e32 v6, 1, v5
	v_cmp_le_u32_e32 vcc, s8, v4
	v_xor_b32_e32 v3, s12, v3
	v_cndmask_b32_e32 v4, v5, v6, vcc
	v_xor_b32_e32 v4, v4, v3
	v_sub_u32_e32 v16, v4, v3
	v_mul_lo_u32 v3, v16, s13
	v_sub_u32_e32 v2, v2, v3
	s_andn2_b64 vcc, exec, s[42:43]
	v_ashrrev_i32_e32 v3, 31, v2
	s_cbranch_vccnz .LBB4_14
; %bb.4:                                ;   in Loop: Header=BB4_3 Depth=1
	v_mul_lo_u32 v4, v13, s18
	v_subrev_u32_e32 v18, s39, v4
	v_mul_lo_u32 v4, v14, s17
	v_subrev_u32_e32 v19, s38, v4
	;; [unrolled: 2-line block ×3, first 2 shown]
	s_waitcnt lgkmcnt(0)
	v_mul_lo_u32 v4, s24, v16
	v_ashrrev_i32_e32 v5, 31, v4
	v_lshlrev_b64 v[4:5], 2, v[4:5]
	v_mov_b32_e32 v6, s41
	v_add_co_u32_e32 v7, vcc, s40, v4
	v_addc_co_u32_e32 v6, vcc, v6, v5, vcc
	v_sub_u32_e32 v5, 0, v2
	v_max_i32_e32 v5, v2, v5
	v_mul_hi_u32 v17, v5, v12
	v_mul_lo_u32 v21, v17, s70
	v_sub_u32_e32 v5, v5, v21
	v_add_u32_e32 v21, 1, v17
	v_cmp_le_u32_e32 vcc, s70, v5
	v_cndmask_b32_e32 v17, v17, v21, vcc
	v_subrev_u32_e32 v21, s70, v5
	v_cndmask_b32_e32 v5, v5, v21, vcc
	v_add_u32_e32 v21, 1, v17
	v_cmp_le_u32_e32 vcc, s70, v5
	v_xor_b32_e32 v4, s71, v3
	v_cndmask_b32_e32 v5, v17, v21, vcc
	v_xor_b32_e32 v5, v5, v4
	v_sub_u32_e32 v4, v5, v4
	v_mul_lo_u32 v4, s25, v4
	v_ashrrev_i32_e32 v5, 31, v4
	v_lshlrev_b64 v[4:5], 2, v[4:5]
	v_add_co_u32_e32 v7, vcc, v7, v4
	v_mul_lo_u32 v4, s26, v20
	v_addc_co_u32_e32 v6, vcc, v6, v5, vcc
	v_ashrrev_i32_e32 v5, 31, v4
	v_lshlrev_b64 v[4:5], 2, v[4:5]
	v_add_co_u32_e32 v7, vcc, v7, v4
	v_mul_lo_u32 v4, s27, v19
	v_addc_co_u32_e32 v6, vcc, v6, v5, vcc
	;; [unrolled: 5-line block ×3, first 2 shown]
	v_ashrrev_i32_e32 v5, 31, v4
	v_lshlrev_b64 v[4:5], 2, v[4:5]
	v_add_co_u32_e32 v4, vcc, v7, v4
	v_addc_co_u32_e32 v5, vcc, v6, v5, vcc
	v_mul_lo_u32 v6, s23, v2
	v_ashrrev_i32_e32 v7, 31, v6
	v_lshlrev_b64 v[6:7], 2, v[6:7]
	v_mov_b32_e32 v17, s55
	v_add_co_u32_e32 v6, vcc, s54, v6
	s_mov_b32 s72, 0
	v_addc_co_u32_e32 v7, vcc, v17, v7, vcc
	v_mov_b32_e32 v17, 0
	s_branch .LBB4_6
.LBB4_5:                                ;   in Loop: Header=BB4_6 Depth=2
	v_mov_b32_e32 v21, s59
	s_add_i32 s72, s72, 1
	v_add_co_u32_e32 v4, vcc, s58, v4
	s_cmp_eq_u32 s72, s20
	v_addc_co_u32_e32 v5, vcc, v5, v21, vcc
	s_cbranch_scc1 .LBB4_15
.LBB4_6:                                ;   Parent Loop BB4_3 Depth=1
                                        ; =>  This Loop Header: Depth=2
                                        ;       Child Loop BB4_9 Depth 3
                                        ;         Child Loop BB4_12 Depth 4
	s_andn2_b64 vcc, exec, s[44:45]
	s_cbranch_vccnz .LBB4_5
; %bb.7:                                ;   in Loop: Header=BB4_6 Depth=2
	v_add_u32_e32 v21, s72, v20
	v_cmp_lt_i32_e64 s[0:1], -1, v21
	v_cmp_gt_i32_e64 s[2:3], s9, v21
	s_mov_b32 s73, 0
	s_branch .LBB4_9
.LBB4_8:                                ;   in Loop: Header=BB4_9 Depth=3
	v_mov_b32_e32 v21, s57
	s_add_i32 s73, s73, 1
	v_add_co_u32_e32 v4, vcc, s56, v4
	s_cmp_eq_u32 s73, s21
	v_addc_co_u32_e32 v5, vcc, v5, v21, vcc
	s_cbranch_scc1 .LBB4_5
.LBB4_9:                                ;   Parent Loop BB4_3 Depth=1
                                        ;     Parent Loop BB4_6 Depth=2
                                        ; =>    This Loop Header: Depth=3
                                        ;         Child Loop BB4_12 Depth 4
	s_andn2_b64 vcc, exec, s[46:47]
	s_cbranch_vccnz .LBB4_8
; %bb.10:                               ;   in Loop: Header=BB4_9 Depth=3
	v_add_u32_e32 v21, s73, v19
	v_cmp_lt_i32_e32 vcc, -1, v21
	s_and_b64 s[60:61], s[0:1], vcc
	v_cmp_gt_i32_e32 vcc, s10, v21
	v_mov_b32_e32 v21, v18
	s_mov_b32 s74, s22
	s_branch .LBB4_12
.LBB4_11:                               ;   in Loop: Header=BB4_12 Depth=4
	s_or_b64 exec, exec, s[4:5]
	v_add_co_u32_e64 v6, s[4:5], 4, v6
	v_addc_co_u32_e64 v7, s[4:5], 0, v7, s[4:5]
	v_add_co_u32_e64 v4, s[4:5], 4, v4
	s_add_i32 s74, s74, -1
	v_addc_co_u32_e64 v5, s[4:5], 0, v5, s[4:5]
	s_cmp_eq_u32 s74, 0
	v_add_u32_e32 v21, 1, v21
	s_cbranch_scc1 .LBB4_8
.LBB4_12:                               ;   Parent Loop BB4_3 Depth=1
                                        ;     Parent Loop BB4_6 Depth=2
                                        ;       Parent Loop BB4_9 Depth=3
                                        ; =>      This Inner Loop Header: Depth=4
	v_cmp_lt_i32_e64 s[4:5], -1, v21
	s_and_b64 s[4:5], s[60:61], s[4:5]
	s_and_b64 s[4:5], s[4:5], s[2:3]
	s_and_b64 s[76:77], s[4:5], vcc
	v_cmp_gt_i32_e64 s[4:5], s11, v21
	s_and_b64 s[76:77], s[76:77], s[4:5]
	s_and_saveexec_b64 s[4:5], s[76:77]
	s_cbranch_execz .LBB4_11
; %bb.13:                               ;   in Loop: Header=BB4_12 Depth=4
	global_load_dword v22, v[6:7], off
	global_load_dword v23, v[4:5], off
	s_waitcnt vmcnt(0)
	v_fmac_f32_e32 v17, v22, v23
	s_branch .LBB4_11
.LBB4_14:                               ;   in Loop: Header=BB4_3 Depth=1
	v_mov_b32_e32 v17, 0
.LBB4_15:                               ;   in Loop: Header=BB4_3 Depth=1
	s_and_b64 vcc, exec, s[48:49]
	s_cbranch_vccz .LBB4_2
; %bb.16:                               ;   in Loop: Header=BB4_3 Depth=1
	v_lshlrev_b64 v[4:5], 2, v[2:3]
	v_mov_b32_e32 v3, s37
	v_add_co_u32_e32 v4, vcc, s36, v4
	v_addc_co_u32_e32 v5, vcc, v3, v5, vcc
	global_load_dword v3, v[4:5], off
	s_waitcnt vmcnt(0)
	v_add_f32_e32 v17, v17, v3
	s_branch .LBB4_2
.LBB4_17:
	s_endpgm
	.section	.rodata,"a",@progbits
	.p2align	6, 0x0
	.amdhsa_kernel _ZN2at6native12_GLOBAL__N_128conv_depthwise3d_cuda_kernelIffLin1ELin1ELin1ELi1ELi1ELi1EEEvN5torch10headeronly6detail27GenericPackedTensorAccessorINS5_14TensorAccessorIN3c108ArrayRefIlEEKT_Lm4ENS4_16DefaultPtrTraitsEiEENS_6detail16IndexBoundsCheckILm5EiEESC_Lm5ESD_iEENS6_INS7_ISA_SB_Lm4ESD_iEESH_SB_Lm5ESD_iEESI_PSC_iiiiiiiii
		.amdhsa_group_segment_fixed_size 0
		.amdhsa_private_segment_fixed_size 0
		.amdhsa_kernarg_size 448
		.amdhsa_user_sgpr_count 6
		.amdhsa_user_sgpr_private_segment_buffer 1
		.amdhsa_user_sgpr_dispatch_ptr 0
		.amdhsa_user_sgpr_queue_ptr 0
		.amdhsa_user_sgpr_kernarg_segment_ptr 1
		.amdhsa_user_sgpr_dispatch_id 0
		.amdhsa_user_sgpr_flat_scratch_init 0
		.amdhsa_user_sgpr_kernarg_preload_length 0
		.amdhsa_user_sgpr_kernarg_preload_offset 0
		.amdhsa_user_sgpr_private_segment_size 0
		.amdhsa_uses_dynamic_stack 0
		.amdhsa_system_sgpr_private_segment_wavefront_offset 0
		.amdhsa_system_sgpr_workgroup_id_x 1
		.amdhsa_system_sgpr_workgroup_id_y 0
		.amdhsa_system_sgpr_workgroup_id_z 0
		.amdhsa_system_sgpr_workgroup_info 0
		.amdhsa_system_vgpr_workitem_id 0
		.amdhsa_next_free_vgpr 24
		.amdhsa_next_free_sgpr 78
		.amdhsa_accum_offset 24
		.amdhsa_reserve_vcc 1
		.amdhsa_reserve_flat_scratch 0
		.amdhsa_float_round_mode_32 0
		.amdhsa_float_round_mode_16_64 0
		.amdhsa_float_denorm_mode_32 3
		.amdhsa_float_denorm_mode_16_64 3
		.amdhsa_dx10_clamp 1
		.amdhsa_ieee_mode 1
		.amdhsa_fp16_overflow 0
		.amdhsa_tg_split 0
		.amdhsa_exception_fp_ieee_invalid_op 0
		.amdhsa_exception_fp_denorm_src 0
		.amdhsa_exception_fp_ieee_div_zero 0
		.amdhsa_exception_fp_ieee_overflow 0
		.amdhsa_exception_fp_ieee_underflow 0
		.amdhsa_exception_fp_ieee_inexact 0
		.amdhsa_exception_int_div_zero 0
	.end_amdhsa_kernel
	.section	.text._ZN2at6native12_GLOBAL__N_128conv_depthwise3d_cuda_kernelIffLin1ELin1ELin1ELi1ELi1ELi1EEEvN5torch10headeronly6detail27GenericPackedTensorAccessorINS5_14TensorAccessorIN3c108ArrayRefIlEEKT_Lm4ENS4_16DefaultPtrTraitsEiEENS_6detail16IndexBoundsCheckILm5EiEESC_Lm5ESD_iEENS6_INS7_ISA_SB_Lm4ESD_iEESH_SB_Lm5ESD_iEESI_PSC_iiiiiiiii,"axG",@progbits,_ZN2at6native12_GLOBAL__N_128conv_depthwise3d_cuda_kernelIffLin1ELin1ELin1ELi1ELi1ELi1EEEvN5torch10headeronly6detail27GenericPackedTensorAccessorINS5_14TensorAccessorIN3c108ArrayRefIlEEKT_Lm4ENS4_16DefaultPtrTraitsEiEENS_6detail16IndexBoundsCheckILm5EiEESC_Lm5ESD_iEENS6_INS7_ISA_SB_Lm4ESD_iEESH_SB_Lm5ESD_iEESI_PSC_iiiiiiiii,comdat
.Lfunc_end4:
	.size	_ZN2at6native12_GLOBAL__N_128conv_depthwise3d_cuda_kernelIffLin1ELin1ELin1ELi1ELi1ELi1EEEvN5torch10headeronly6detail27GenericPackedTensorAccessorINS5_14TensorAccessorIN3c108ArrayRefIlEEKT_Lm4ENS4_16DefaultPtrTraitsEiEENS_6detail16IndexBoundsCheckILm5EiEESC_Lm5ESD_iEENS6_INS7_ISA_SB_Lm4ESD_iEESH_SB_Lm5ESD_iEESI_PSC_iiiiiiiii, .Lfunc_end4-_ZN2at6native12_GLOBAL__N_128conv_depthwise3d_cuda_kernelIffLin1ELin1ELin1ELi1ELi1ELi1EEEvN5torch10headeronly6detail27GenericPackedTensorAccessorINS5_14TensorAccessorIN3c108ArrayRefIlEEKT_Lm4ENS4_16DefaultPtrTraitsEiEENS_6detail16IndexBoundsCheckILm5EiEESC_Lm5ESD_iEENS6_INS7_ISA_SB_Lm4ESD_iEESH_SB_Lm5ESD_iEESI_PSC_iiiiiiiii
                                        ; -- End function
	.section	.AMDGPU.csdata,"",@progbits
; Kernel info:
; codeLenInByte = 1776
; NumSgprs: 82
; NumVgprs: 24
; NumAgprs: 0
; TotalNumVgprs: 24
; ScratchSize: 0
; MemoryBound: 0
; FloatMode: 240
; IeeeMode: 1
; LDSByteSize: 0 bytes/workgroup (compile time only)
; SGPRBlocks: 10
; VGPRBlocks: 2
; NumSGPRsForWavesPerEU: 82
; NumVGPRsForWavesPerEU: 24
; AccumOffset: 24
; Occupancy: 8
; WaveLimiterHint : 0
; COMPUTE_PGM_RSRC2:SCRATCH_EN: 0
; COMPUTE_PGM_RSRC2:USER_SGPR: 6
; COMPUTE_PGM_RSRC2:TRAP_HANDLER: 0
; COMPUTE_PGM_RSRC2:TGID_X_EN: 1
; COMPUTE_PGM_RSRC2:TGID_Y_EN: 0
; COMPUTE_PGM_RSRC2:TGID_Z_EN: 0
; COMPUTE_PGM_RSRC2:TIDIG_COMP_CNT: 0
; COMPUTE_PGM_RSRC3_GFX90A:ACCUM_OFFSET: 5
; COMPUTE_PGM_RSRC3_GFX90A:TG_SPLIT: 0
	.section	.text._ZN2at6native12_GLOBAL__N_128conv_depthwise3d_cuda_kernelIffLin1ELin1ELin1ELin1ELin1ELin1EEEvN5torch10headeronly6detail27GenericPackedTensorAccessorINS5_14TensorAccessorIN3c108ArrayRefIlEEKT_Lm4ENS4_16DefaultPtrTraitsEiEENS_6detail16IndexBoundsCheckILm5EiEESC_Lm5ESD_iEENS6_INS7_ISA_SB_Lm4ESD_iEESH_SB_Lm5ESD_iEESI_PSC_iiiiiiiii,"axG",@progbits,_ZN2at6native12_GLOBAL__N_128conv_depthwise3d_cuda_kernelIffLin1ELin1ELin1ELin1ELin1ELin1EEEvN5torch10headeronly6detail27GenericPackedTensorAccessorINS5_14TensorAccessorIN3c108ArrayRefIlEEKT_Lm4ENS4_16DefaultPtrTraitsEiEENS_6detail16IndexBoundsCheckILm5EiEESC_Lm5ESD_iEENS6_INS7_ISA_SB_Lm4ESD_iEESH_SB_Lm5ESD_iEESI_PSC_iiiiiiiii,comdat
	.globl	_ZN2at6native12_GLOBAL__N_128conv_depthwise3d_cuda_kernelIffLin1ELin1ELin1ELin1ELin1ELin1EEEvN5torch10headeronly6detail27GenericPackedTensorAccessorINS5_14TensorAccessorIN3c108ArrayRefIlEEKT_Lm4ENS4_16DefaultPtrTraitsEiEENS_6detail16IndexBoundsCheckILm5EiEESC_Lm5ESD_iEENS6_INS7_ISA_SB_Lm4ESD_iEESH_SB_Lm5ESD_iEESI_PSC_iiiiiiiii ; -- Begin function _ZN2at6native12_GLOBAL__N_128conv_depthwise3d_cuda_kernelIffLin1ELin1ELin1ELin1ELin1ELin1EEEvN5torch10headeronly6detail27GenericPackedTensorAccessorINS5_14TensorAccessorIN3c108ArrayRefIlEEKT_Lm4ENS4_16DefaultPtrTraitsEiEENS_6detail16IndexBoundsCheckILm5EiEESC_Lm5ESD_iEENS6_INS7_ISA_SB_Lm4ESD_iEESH_SB_Lm5ESD_iEESI_PSC_iiiiiiiii
	.p2align	8
	.type	_ZN2at6native12_GLOBAL__N_128conv_depthwise3d_cuda_kernelIffLin1ELin1ELin1ELin1ELin1ELin1EEEvN5torch10headeronly6detail27GenericPackedTensorAccessorINS5_14TensorAccessorIN3c108ArrayRefIlEEKT_Lm4ENS4_16DefaultPtrTraitsEiEENS_6detail16IndexBoundsCheckILm5EiEESC_Lm5ESD_iEENS6_INS7_ISA_SB_Lm4ESD_iEESH_SB_Lm5ESD_iEESI_PSC_iiiiiiiii,@function
_ZN2at6native12_GLOBAL__N_128conv_depthwise3d_cuda_kernelIffLin1ELin1ELin1ELin1ELin1ELin1EEEvN5torch10headeronly6detail27GenericPackedTensorAccessorINS5_14TensorAccessorIN3c108ArrayRefIlEEKT_Lm4ENS4_16DefaultPtrTraitsEiEENS_6detail16IndexBoundsCheckILm5EiEESC_Lm5ESD_iEENS6_INS7_ISA_SB_Lm4ESD_iEESH_SB_Lm5ESD_iEESI_PSC_iiiiiiiii: ; @_ZN2at6native12_GLOBAL__N_128conv_depthwise3d_cuda_kernelIffLin1ELin1ELin1ELin1ELin1ELin1EEEvN5torch10headeronly6detail27GenericPackedTensorAccessorINS5_14TensorAccessorIN3c108ArrayRefIlEEKT_Lm4ENS4_16DefaultPtrTraitsEiEENS_6detail16IndexBoundsCheckILm5EiEESC_Lm5ESD_iEENS6_INS7_ISA_SB_Lm4ESD_iEESH_SB_Lm5ESD_iEESI_PSC_iiiiiiiii
; %bb.0:
	s_load_dwordx4 s[16:19], s[4:5], 0xc
	s_load_dwordx4 s[20:23], s[4:5], 0x38
	s_load_dwordx2 s[34:35], s[4:5], 0x48
	s_load_dword s2, s[4:5], 0xcc
	v_mov_b32_e32 v1, 0
	s_waitcnt lgkmcnt(0)
	s_abs_i32 s3, s16
	v_cvt_f32_u32_e32 v2, s3
	s_add_u32 s0, s4, 0xc0
	v_mov_b32_e32 v3, s6
	s_mul_i32 s6, s35, s20
	v_rcp_iflag_f32_e32 v2, v2
	s_addc_u32 s1, s5, 0
	s_and_b32 s2, s2, 0xffff
	v_mad_u64_u32 v[0:1], s[8:9], s2, v3, v[0:1]
	v_mul_f32_e32 v2, 0x4f7ffffe, v2
	v_cvt_u32_f32_e32 v2, v2
	s_ashr_i32 s7, s6, 31
	v_cmp_gt_i64_e32 vcc, s[6:7], v[0:1]
	v_readfirstlane_b32 s8, v2
	s_and_saveexec_b64 s[10:11], vcc
	s_cbranch_execz .LBB5_17
; %bb.1:
	s_sub_i32 s9, 0, s3
	s_mul_i32 s9, s9, s8
	s_mul_hi_u32 s9, s8, s9
	s_ashr_i32 s24, s16, 31
	s_abs_i32 s16, s21
	s_add_i32 s8, s8, s9
	s_mul_hi_u32 s25, s16, s8
	s_mul_i32 s26, s25, s3
	s_ashr_i32 s20, s21, 31
	s_sub_i32 s26, s16, s26
	s_xor_b32 s24, s20, s24
	s_add_i32 s27, s25, 1
	s_sub_i32 s28, s26, s3
	s_cmp_ge_u32 s26, s3
	s_cselect_b32 s25, s27, s25
	s_cselect_b32 s26, s28, s26
	s_add_i32 s27, s25, 1
	s_cmp_ge_u32 s26, s3
	s_cselect_b32 s3, s27, s25
	s_xor_b32 s3, s3, s24
	s_load_dwordx2 s[40:41], s[4:5], 0x90
	s_load_dwordx8 s[8:15], s[4:5], 0x98
	s_load_dword s42, s[4:5], 0xb8
	s_sub_i32 s3, s3, s24
	s_load_dwordx4 s[24:27], s[4:5], 0x70
	s_load_dword s60, s[0:1], 0x0
                                        ; kill: killed $sgpr0 killed $sgpr1
	s_waitcnt lgkmcnt(0)
	s_load_dword s27, s[4:5], 0x7c
	s_load_dwordx2 s[44:45], s[4:5], 0x0
	s_load_dwordx4 s[28:31], s[4:5], 0x1c
	s_mul_i32 s36, s18, s14
	s_mul_i32 s0, s19, s15
	s_cmp_gt_i32 s24, 0
	s_cselect_b64 s[46:47], -1, 0
	s_cmp_gt_i32 s25, 0
	s_cselect_b64 s[48:49], -1, 0
	s_cmp_gt_i32 s26, 0
	s_mul_i32 s37, s25, s15
	s_cselect_b64 s[50:51], -1, 0
	s_mul_i32 s1, s26, s42
	s_sub_i32 s36, s36, s37
	s_sub_i32 s0, s0, s1
	s_mul_i32 s64, s36, s19
	s_ashr_i32 s43, s42, 31
	s_ashr_i32 s1, s0, 31
	;; [unrolled: 1-line block ×3, first 2 shown]
	s_cmp_lg_u64 s[40:41], 0
	s_cselect_b64 s[52:53], -1, 0
	s_abs_i32 s68, s34
	v_cvt_f32_u32_e32 v2, s68
	s_abs_i32 s71, s23
	v_cvt_f32_u32_e32 v3, s71
	s_mul_i32 s70, s60, s2
	v_rcp_iflag_f32_e32 v2, v2
	s_sub_i32 s2, 0, s68
	v_rcp_iflag_f32_e32 v3, v3
	s_abs_i32 s73, s22
	v_mul_f32_e32 v2, 0x4f7ffffe, v2
	v_cvt_u32_f32_e32 v2, v2
	s_abs_i32 s76, s3
	v_cvt_f32_u32_e32 v5, s76
	s_load_dword s69, s[4:5], 0x2c
	s_load_dwordx2 s[54:55], s[4:5], 0x30
	v_mul_lo_u32 v4, s2, v2
	v_mul_hi_u32 v4, v2, v4
	v_add_u32_e32 v8, v2, v4
	v_mul_f32_e32 v2, 0x4f7ffffe, v3
	v_cvt_f32_u32_e32 v3, s73
	v_cvt_u32_f32_e32 v2, v2
	s_sub_i32 s2, 0, s71
	s_load_dwordx2 s[58:59], s[4:5], 0x60
	s_load_dwordx4 s[36:39], s[4:5], 0x50
	v_rcp_iflag_f32_e32 v3, v3
	v_mul_lo_u32 v4, s2, v2
	v_mul_hi_u32 v4, v2, v4
	v_add_u32_e32 v9, v2, v4
	v_mul_f32_e32 v2, 0x4f7ffffe, v3
	v_cvt_u32_f32_e32 v2, v2
	v_cvt_f32_u32_e32 v3, s16
	s_sub_i32 s2, 0, s73
	s_mov_b32 s33, 0
	v_mul_lo_u32 v4, s2, v2
	v_rcp_iflag_f32_e32 v3, v3
	v_mul_hi_u32 v4, v2, v4
	v_add_u32_e32 v10, v2, v4
	v_rcp_iflag_f32_e32 v2, v5
	v_mul_f32_e32 v3, 0x4f7ffffe, v3
	v_cvt_u32_f32_e32 v3, v3
	s_sub_i32 s2, 0, s16
	v_mul_f32_e32 v2, 0x4f7ffffe, v2
	v_cvt_u32_f32_e32 v2, v2
	v_mul_lo_u32 v4, s2, v3
	v_mul_hi_u32 v4, v3, v4
	s_sub_i32 s2, 0, s76
	v_add_u32_e32 v11, v3, v4
	v_mul_lo_u32 v3, s2, v2
	v_mul_hi_u32 v3, v2, v3
	s_mov_b64 s[56:57], 0
	s_ashr_i32 s72, s34, 31
	s_ashr_i32 s74, s23, 31
	;; [unrolled: 1-line block ×4, first 2 shown]
	v_add_u32_e32 v12, v2, v3
	s_lshl_b64 s[60:61], s[42:43], 2
	s_lshl_b64 s[62:63], s[0:1], 2
	;; [unrolled: 1-line block ×3, first 2 shown]
	s_branch .LBB5_3
.LBB5_2:                                ;   in Loop: Header=BB5_3 Depth=1
	v_mul_lo_u32 v4, v16, s35
	v_ashrrev_i32_e32 v5, 31, v4
	v_lshlrev_b64 v[4:5], 2, v[4:5]
	s_waitcnt lgkmcnt(0)
	v_mov_b32_e32 v3, s55
	v_add_co_u32_e32 v4, vcc, s54, v4
	v_mul_lo_u32 v2, s36, v2
	v_addc_co_u32_e32 v5, vcc, v3, v5, vcc
	v_ashrrev_i32_e32 v3, 31, v2
	v_lshlrev_b64 v[2:3], 2, v[2:3]
	v_add_co_u32_e32 v4, vcc, v4, v2
	v_mul_lo_u32 v2, s37, v15
	v_addc_co_u32_e32 v5, vcc, v5, v3, vcc
	v_ashrrev_i32_e32 v3, 31, v2
	v_lshlrev_b64 v[2:3], 2, v[2:3]
	;; [unrolled: 5-line block ×4, first 2 shown]
	v_add_co_u32_e32 v2, vcc, v4, v2
	v_addc_co_u32_e32 v3, vcc, v5, v3, vcc
	v_mov_b32_e32 v4, s33
	v_add_co_u32_e32 v0, vcc, s70, v0
	v_addc_co_u32_e32 v1, vcc, v1, v4, vcc
	v_cmp_le_i64_e32 vcc, s[6:7], v[0:1]
	s_or_b64 s[56:57], vcc, s[56:57]
	global_store_dword v[2:3], v17, off
	s_andn2_b64 exec, exec, s[56:57]
	s_cbranch_execz .LBB5_17
.LBB5_3:                                ; =>This Loop Header: Depth=1
                                        ;     Child Loop BB5_6 Depth 2
                                        ;       Child Loop BB5_9 Depth 3
                                        ;         Child Loop BB5_12 Depth 4
	v_sub_u32_e32 v3, 0, v0
	v_max_i32_e32 v3, v0, v3
	v_mul_hi_u32 v4, v3, v8
	v_mul_lo_u32 v5, v4, s68
	v_sub_u32_e32 v3, v3, v5
	v_add_u32_e32 v5, 1, v4
	v_cmp_le_u32_e32 vcc, s68, v3
	v_cndmask_b32_e32 v4, v4, v5, vcc
	v_subrev_u32_e32 v5, s68, v3
	v_cndmask_b32_e32 v3, v3, v5, vcc
	v_ashrrev_i32_e32 v2, 31, v0
	v_add_u32_e32 v5, 1, v4
	v_cmp_le_u32_e32 vcc, s68, v3
	v_xor_b32_e32 v2, s72, v2
	v_cndmask_b32_e32 v3, v4, v5, vcc
	v_xor_b32_e32 v3, v3, v2
	v_sub_u32_e32 v2, v3, v2
	v_sub_u32_e32 v4, 0, v2
	v_max_i32_e32 v4, v2, v4
	v_mul_hi_u32 v5, v4, v9
	v_mul_lo_u32 v6, v5, s71
	v_sub_u32_e32 v4, v4, v6
	v_add_u32_e32 v6, 1, v5
	v_cmp_le_u32_e32 vcc, s71, v4
	v_cndmask_b32_e32 v5, v5, v6, vcc
	v_subrev_u32_e32 v6, s71, v4
	v_mul_lo_u32 v3, v2, s34
	v_cndmask_b32_e32 v4, v4, v6, vcc
	v_sub_u32_e32 v13, v0, v3
	v_ashrrev_i32_e32 v3, 31, v2
	v_add_u32_e32 v6, 1, v5
	v_cmp_le_u32_e32 vcc, s71, v4
	v_xor_b32_e32 v3, s74, v3
	v_cndmask_b32_e32 v4, v5, v6, vcc
	v_xor_b32_e32 v4, v4, v3
	v_sub_u32_e32 v3, v4, v3
	v_mul_lo_u32 v4, v3, s23
	v_sub_u32_e32 v14, v2, v4
	v_sub_u32_e32 v4, 0, v3
	v_max_i32_e32 v4, v3, v4
	v_mul_hi_u32 v5, v4, v10
	v_mul_lo_u32 v6, v5, s73
	v_sub_u32_e32 v4, v4, v6
	v_add_u32_e32 v6, 1, v5
	v_cmp_le_u32_e32 vcc, s73, v4
	v_cndmask_b32_e32 v5, v5, v6, vcc
	v_subrev_u32_e32 v6, s73, v4
	v_cndmask_b32_e32 v4, v4, v6, vcc
	v_ashrrev_i32_e32 v2, 31, v3
	v_add_u32_e32 v6, 1, v5
	v_cmp_le_u32_e32 vcc, s73, v4
	v_xor_b32_e32 v2, s75, v2
	v_cndmask_b32_e32 v4, v5, v6, vcc
	v_xor_b32_e32 v4, v4, v2
	v_sub_u32_e32 v2, v4, v2
	v_mul_lo_u32 v4, v2, s22
	v_sub_u32_e32 v15, v3, v4
	v_sub_u32_e32 v4, 0, v2
	v_max_i32_e32 v4, v2, v4
	v_mul_hi_u32 v5, v4, v11
	v_mul_lo_u32 v6, v5, s16
	v_sub_u32_e32 v4, v4, v6
	v_add_u32_e32 v6, 1, v5
	v_cmp_le_u32_e32 vcc, s16, v4
	v_cndmask_b32_e32 v5, v5, v6, vcc
	v_subrev_u32_e32 v6, s16, v4
	v_cndmask_b32_e32 v4, v4, v6, vcc
	v_ashrrev_i32_e32 v3, 31, v2
	v_add_u32_e32 v6, 1, v5
	v_cmp_le_u32_e32 vcc, s16, v4
	v_xor_b32_e32 v3, s20, v3
	v_cndmask_b32_e32 v4, v5, v6, vcc
	v_xor_b32_e32 v4, v4, v3
	v_sub_u32_e32 v16, v4, v3
	v_mul_lo_u32 v3, v16, s21
	v_sub_u32_e32 v2, v2, v3
	s_andn2_b64 vcc, exec, s[46:47]
	v_ashrrev_i32_e32 v3, 31, v2
	s_cbranch_vccnz .LBB5_14
; %bb.4:                                ;   in Loop: Header=BB5_3 Depth=1
	v_mul_lo_u32 v4, v13, s10
	v_subrev_u32_e32 v18, s13, v4
	v_mul_lo_u32 v4, v14, s9
	v_subrev_u32_e32 v19, s12, v4
	;; [unrolled: 2-line block ×3, first 2 shown]
	s_waitcnt lgkmcnt(0)
	v_mul_lo_u32 v4, s28, v16
	v_ashrrev_i32_e32 v5, 31, v4
	v_lshlrev_b64 v[4:5], 2, v[4:5]
	v_mov_b32_e32 v6, s45
	v_add_co_u32_e32 v7, vcc, s44, v4
	v_addc_co_u32_e32 v6, vcc, v6, v5, vcc
	v_sub_u32_e32 v5, 0, v2
	v_max_i32_e32 v5, v2, v5
	v_mul_hi_u32 v17, v5, v12
	v_mul_lo_u32 v21, v17, s76
	v_sub_u32_e32 v5, v5, v21
	v_add_u32_e32 v21, 1, v17
	v_cmp_le_u32_e32 vcc, s76, v5
	v_cndmask_b32_e32 v17, v17, v21, vcc
	v_subrev_u32_e32 v21, s76, v5
	v_cndmask_b32_e32 v5, v5, v21, vcc
	v_add_u32_e32 v21, 1, v17
	v_cmp_le_u32_e32 vcc, s76, v5
	v_xor_b32_e32 v4, s77, v3
	v_cndmask_b32_e32 v5, v17, v21, vcc
	v_xor_b32_e32 v5, v5, v4
	v_sub_u32_e32 v4, v5, v4
	v_mul_lo_u32 v4, s29, v4
	v_ashrrev_i32_e32 v5, 31, v4
	v_lshlrev_b64 v[4:5], 2, v[4:5]
	v_add_co_u32_e32 v7, vcc, v7, v4
	v_mul_lo_u32 v4, s30, v20
	v_addc_co_u32_e32 v6, vcc, v6, v5, vcc
	v_ashrrev_i32_e32 v5, 31, v4
	v_lshlrev_b64 v[4:5], 2, v[4:5]
	v_add_co_u32_e32 v7, vcc, v7, v4
	v_mul_lo_u32 v4, s31, v19
	v_addc_co_u32_e32 v6, vcc, v6, v5, vcc
	;; [unrolled: 5-line block ×3, first 2 shown]
	v_ashrrev_i32_e32 v5, 31, v4
	v_lshlrev_b64 v[4:5], 2, v[4:5]
	v_add_co_u32_e32 v4, vcc, v7, v4
	v_addc_co_u32_e32 v5, vcc, v6, v5, vcc
	v_mul_lo_u32 v6, s27, v2
	v_ashrrev_i32_e32 v7, 31, v6
	v_lshlrev_b64 v[6:7], 2, v[6:7]
	v_mov_b32_e32 v17, s59
	v_add_co_u32_e32 v6, vcc, s58, v6
	s_mov_b32 s43, 0
	v_addc_co_u32_e32 v7, vcc, v17, v7, vcc
	v_mov_b32_e32 v17, 0
	s_branch .LBB5_6
.LBB5_5:                                ;   in Loop: Header=BB5_6 Depth=2
	v_mov_b32_e32 v21, s65
	s_add_i32 s43, s43, 1
	v_add_co_u32_e32 v4, vcc, s64, v4
	s_cmp_eq_u32 s43, s24
	v_addc_co_u32_e32 v5, vcc, v5, v21, vcc
	s_cbranch_scc1 .LBB5_15
.LBB5_6:                                ;   Parent Loop BB5_3 Depth=1
                                        ; =>  This Loop Header: Depth=2
                                        ;       Child Loop BB5_9 Depth 3
                                        ;         Child Loop BB5_12 Depth 4
	s_andn2_b64 vcc, exec, s[48:49]
	s_cbranch_vccnz .LBB5_5
; %bb.7:                                ;   in Loop: Header=BB5_6 Depth=2
	s_mul_i32 s0, s43, s14
	v_add_u32_e32 v21, s0, v20
	v_cmp_lt_i32_e64 s[0:1], -1, v21
	v_cmp_gt_i32_e64 s[2:3], s17, v21
	s_mov_b32 s78, 0
	s_branch .LBB5_9
.LBB5_8:                                ;   in Loop: Header=BB5_9 Depth=3
	v_mov_b32_e32 v21, s63
	s_add_i32 s78, s78, 1
	v_add_co_u32_e32 v4, vcc, s62, v4
	s_cmp_eq_u32 s78, s25
	v_addc_co_u32_e32 v5, vcc, v5, v21, vcc
	s_cbranch_scc1 .LBB5_5
.LBB5_9:                                ;   Parent Loop BB5_3 Depth=1
                                        ;     Parent Loop BB5_6 Depth=2
                                        ; =>    This Loop Header: Depth=3
                                        ;         Child Loop BB5_12 Depth 4
	s_andn2_b64 vcc, exec, s[50:51]
	s_cbranch_vccnz .LBB5_8
; %bb.10:                               ;   in Loop: Header=BB5_9 Depth=3
	s_mul_i32 s4, s78, s15
	v_add_u32_e32 v21, s4, v19
	v_cmp_lt_i32_e32 vcc, -1, v21
	s_and_b64 s[66:67], s[0:1], vcc
	v_cmp_gt_i32_e32 vcc, s18, v21
	v_mov_b32_e32 v21, v18
	s_mov_b32 s79, s26
	s_branch .LBB5_12
.LBB5_11:                               ;   in Loop: Header=BB5_12 Depth=4
	s_or_b64 exec, exec, s[4:5]
	v_add_co_u32_e64 v6, s[4:5], 4, v6
	v_addc_co_u32_e64 v7, s[4:5], 0, v7, s[4:5]
	s_add_i32 s79, s79, -1
	v_mov_b32_e32 v22, s61
	v_add_co_u32_e64 v4, s[4:5], s60, v4
	v_add_u32_e32 v21, s42, v21
	s_cmp_eq_u32 s79, 0
	v_addc_co_u32_e64 v5, s[4:5], v5, v22, s[4:5]
	s_cbranch_scc1 .LBB5_8
.LBB5_12:                               ;   Parent Loop BB5_3 Depth=1
                                        ;     Parent Loop BB5_6 Depth=2
                                        ;       Parent Loop BB5_9 Depth=3
                                        ; =>      This Inner Loop Header: Depth=4
	v_cmp_lt_i32_e64 s[4:5], -1, v21
	s_and_b64 s[4:5], s[66:67], s[4:5]
	s_and_b64 s[4:5], s[4:5], s[2:3]
	s_and_b64 s[80:81], s[4:5], vcc
	v_cmp_gt_i32_e64 s[4:5], s19, v21
	s_and_b64 s[80:81], s[80:81], s[4:5]
	s_and_saveexec_b64 s[4:5], s[80:81]
	s_cbranch_execz .LBB5_11
; %bb.13:                               ;   in Loop: Header=BB5_12 Depth=4
	global_load_dword v22, v[6:7], off
	global_load_dword v23, v[4:5], off
	s_waitcnt vmcnt(0)
	v_fmac_f32_e32 v17, v22, v23
	s_branch .LBB5_11
.LBB5_14:                               ;   in Loop: Header=BB5_3 Depth=1
	v_mov_b32_e32 v17, 0
.LBB5_15:                               ;   in Loop: Header=BB5_3 Depth=1
	s_and_b64 vcc, exec, s[52:53]
	s_cbranch_vccz .LBB5_2
; %bb.16:                               ;   in Loop: Header=BB5_3 Depth=1
	v_lshlrev_b64 v[4:5], 2, v[2:3]
	v_mov_b32_e32 v3, s41
	v_add_co_u32_e32 v4, vcc, s40, v4
	v_addc_co_u32_e32 v5, vcc, v3, v5, vcc
	global_load_dword v3, v[4:5], off
	s_waitcnt vmcnt(0)
	v_add_f32_e32 v17, v17, v3
	s_branch .LBB5_2
.LBB5_17:
	s_endpgm
	.section	.rodata,"a",@progbits
	.p2align	6, 0x0
	.amdhsa_kernel _ZN2at6native12_GLOBAL__N_128conv_depthwise3d_cuda_kernelIffLin1ELin1ELin1ELin1ELin1ELin1EEEvN5torch10headeronly6detail27GenericPackedTensorAccessorINS5_14TensorAccessorIN3c108ArrayRefIlEEKT_Lm4ENS4_16DefaultPtrTraitsEiEENS_6detail16IndexBoundsCheckILm5EiEESC_Lm5ESD_iEENS6_INS7_ISA_SB_Lm4ESD_iEESH_SB_Lm5ESD_iEESI_PSC_iiiiiiiii
		.amdhsa_group_segment_fixed_size 0
		.amdhsa_private_segment_fixed_size 0
		.amdhsa_kernarg_size 448
		.amdhsa_user_sgpr_count 6
		.amdhsa_user_sgpr_private_segment_buffer 1
		.amdhsa_user_sgpr_dispatch_ptr 0
		.amdhsa_user_sgpr_queue_ptr 0
		.amdhsa_user_sgpr_kernarg_segment_ptr 1
		.amdhsa_user_sgpr_dispatch_id 0
		.amdhsa_user_sgpr_flat_scratch_init 0
		.amdhsa_user_sgpr_kernarg_preload_length 0
		.amdhsa_user_sgpr_kernarg_preload_offset 0
		.amdhsa_user_sgpr_private_segment_size 0
		.amdhsa_uses_dynamic_stack 0
		.amdhsa_system_sgpr_private_segment_wavefront_offset 0
		.amdhsa_system_sgpr_workgroup_id_x 1
		.amdhsa_system_sgpr_workgroup_id_y 0
		.amdhsa_system_sgpr_workgroup_id_z 0
		.amdhsa_system_sgpr_workgroup_info 0
		.amdhsa_system_vgpr_workitem_id 0
		.amdhsa_next_free_vgpr 24
		.amdhsa_next_free_sgpr 82
		.amdhsa_accum_offset 24
		.amdhsa_reserve_vcc 1
		.amdhsa_reserve_flat_scratch 0
		.amdhsa_float_round_mode_32 0
		.amdhsa_float_round_mode_16_64 0
		.amdhsa_float_denorm_mode_32 3
		.amdhsa_float_denorm_mode_16_64 3
		.amdhsa_dx10_clamp 1
		.amdhsa_ieee_mode 1
		.amdhsa_fp16_overflow 0
		.amdhsa_tg_split 0
		.amdhsa_exception_fp_ieee_invalid_op 0
		.amdhsa_exception_fp_denorm_src 0
		.amdhsa_exception_fp_ieee_div_zero 0
		.amdhsa_exception_fp_ieee_overflow 0
		.amdhsa_exception_fp_ieee_underflow 0
		.amdhsa_exception_fp_ieee_inexact 0
		.amdhsa_exception_int_div_zero 0
	.end_amdhsa_kernel
	.section	.text._ZN2at6native12_GLOBAL__N_128conv_depthwise3d_cuda_kernelIffLin1ELin1ELin1ELin1ELin1ELin1EEEvN5torch10headeronly6detail27GenericPackedTensorAccessorINS5_14TensorAccessorIN3c108ArrayRefIlEEKT_Lm4ENS4_16DefaultPtrTraitsEiEENS_6detail16IndexBoundsCheckILm5EiEESC_Lm5ESD_iEENS6_INS7_ISA_SB_Lm4ESD_iEESH_SB_Lm5ESD_iEESI_PSC_iiiiiiiii,"axG",@progbits,_ZN2at6native12_GLOBAL__N_128conv_depthwise3d_cuda_kernelIffLin1ELin1ELin1ELin1ELin1ELin1EEEvN5torch10headeronly6detail27GenericPackedTensorAccessorINS5_14TensorAccessorIN3c108ArrayRefIlEEKT_Lm4ENS4_16DefaultPtrTraitsEiEENS_6detail16IndexBoundsCheckILm5EiEESC_Lm5ESD_iEENS6_INS7_ISA_SB_Lm4ESD_iEESH_SB_Lm5ESD_iEESI_PSC_iiiiiiiii,comdat
.Lfunc_end5:
	.size	_ZN2at6native12_GLOBAL__N_128conv_depthwise3d_cuda_kernelIffLin1ELin1ELin1ELin1ELin1ELin1EEEvN5torch10headeronly6detail27GenericPackedTensorAccessorINS5_14TensorAccessorIN3c108ArrayRefIlEEKT_Lm4ENS4_16DefaultPtrTraitsEiEENS_6detail16IndexBoundsCheckILm5EiEESC_Lm5ESD_iEENS6_INS7_ISA_SB_Lm4ESD_iEESH_SB_Lm5ESD_iEESI_PSC_iiiiiiiii, .Lfunc_end5-_ZN2at6native12_GLOBAL__N_128conv_depthwise3d_cuda_kernelIffLin1ELin1ELin1ELin1ELin1ELin1EEEvN5torch10headeronly6detail27GenericPackedTensorAccessorINS5_14TensorAccessorIN3c108ArrayRefIlEEKT_Lm4ENS4_16DefaultPtrTraitsEiEENS_6detail16IndexBoundsCheckILm5EiEESC_Lm5ESD_iEENS6_INS7_ISA_SB_Lm4ESD_iEESH_SB_Lm5ESD_iEESI_PSC_iiiiiiiii
                                        ; -- End function
	.section	.AMDGPU.csdata,"",@progbits
; Kernel info:
; codeLenInByte = 1812
; NumSgprs: 86
; NumVgprs: 24
; NumAgprs: 0
; TotalNumVgprs: 24
; ScratchSize: 0
; MemoryBound: 0
; FloatMode: 240
; IeeeMode: 1
; LDSByteSize: 0 bytes/workgroup (compile time only)
; SGPRBlocks: 10
; VGPRBlocks: 2
; NumSGPRsForWavesPerEU: 86
; NumVGPRsForWavesPerEU: 24
; AccumOffset: 24
; Occupancy: 8
; WaveLimiterHint : 0
; COMPUTE_PGM_RSRC2:SCRATCH_EN: 0
; COMPUTE_PGM_RSRC2:USER_SGPR: 6
; COMPUTE_PGM_RSRC2:TRAP_HANDLER: 0
; COMPUTE_PGM_RSRC2:TGID_X_EN: 1
; COMPUTE_PGM_RSRC2:TGID_Y_EN: 0
; COMPUTE_PGM_RSRC2:TGID_Z_EN: 0
; COMPUTE_PGM_RSRC2:TIDIG_COMP_CNT: 0
; COMPUTE_PGM_RSRC3_GFX90A:ACCUM_OFFSET: 5
; COMPUTE_PGM_RSRC3_GFX90A:TG_SPLIT: 0
	.section	.text._ZN2at6native12_GLOBAL__N_128conv_depthwise3d_cuda_kernelIN3c104HalfEfLi3ELi3ELi3ELi1ELi1ELi1EEEvN5torch10headeronly6detail27GenericPackedTensorAccessorINS7_14TensorAccessorINS3_8ArrayRefIlEEKT_Lm4ENS6_16DefaultPtrTraitsEiEENS_6detail16IndexBoundsCheckILm5EiEESD_Lm5ESE_iEENS8_INS9_ISB_SC_Lm4ESE_iEESI_SC_Lm5ESE_iEESJ_PSD_iiiiiiiii,"axG",@progbits,_ZN2at6native12_GLOBAL__N_128conv_depthwise3d_cuda_kernelIN3c104HalfEfLi3ELi3ELi3ELi1ELi1ELi1EEEvN5torch10headeronly6detail27GenericPackedTensorAccessorINS7_14TensorAccessorINS3_8ArrayRefIlEEKT_Lm4ENS6_16DefaultPtrTraitsEiEENS_6detail16IndexBoundsCheckILm5EiEESD_Lm5ESE_iEENS8_INS9_ISB_SC_Lm4ESE_iEESI_SC_Lm5ESE_iEESJ_PSD_iiiiiiiii,comdat
	.globl	_ZN2at6native12_GLOBAL__N_128conv_depthwise3d_cuda_kernelIN3c104HalfEfLi3ELi3ELi3ELi1ELi1ELi1EEEvN5torch10headeronly6detail27GenericPackedTensorAccessorINS7_14TensorAccessorINS3_8ArrayRefIlEEKT_Lm4ENS6_16DefaultPtrTraitsEiEENS_6detail16IndexBoundsCheckILm5EiEESD_Lm5ESE_iEENS8_INS9_ISB_SC_Lm4ESE_iEESI_SC_Lm5ESE_iEESJ_PSD_iiiiiiiii ; -- Begin function _ZN2at6native12_GLOBAL__N_128conv_depthwise3d_cuda_kernelIN3c104HalfEfLi3ELi3ELi3ELi1ELi1ELi1EEEvN5torch10headeronly6detail27GenericPackedTensorAccessorINS7_14TensorAccessorINS3_8ArrayRefIlEEKT_Lm4ENS6_16DefaultPtrTraitsEiEENS_6detail16IndexBoundsCheckILm5EiEESD_Lm5ESE_iEENS8_INS9_ISB_SC_Lm4ESE_iEESI_SC_Lm5ESE_iEESJ_PSD_iiiiiiiii
	.p2align	8
	.type	_ZN2at6native12_GLOBAL__N_128conv_depthwise3d_cuda_kernelIN3c104HalfEfLi3ELi3ELi3ELi1ELi1ELi1EEEvN5torch10headeronly6detail27GenericPackedTensorAccessorINS7_14TensorAccessorINS3_8ArrayRefIlEEKT_Lm4ENS6_16DefaultPtrTraitsEiEENS_6detail16IndexBoundsCheckILm5EiEESD_Lm5ESE_iEENS8_INS9_ISB_SC_Lm4ESE_iEESI_SC_Lm5ESE_iEESJ_PSD_iiiiiiiii,@function
_ZN2at6native12_GLOBAL__N_128conv_depthwise3d_cuda_kernelIN3c104HalfEfLi3ELi3ELi3ELi1ELi1ELi1EEEvN5torch10headeronly6detail27GenericPackedTensorAccessorINS7_14TensorAccessorINS3_8ArrayRefIlEEKT_Lm4ENS6_16DefaultPtrTraitsEiEENS_6detail16IndexBoundsCheckILm5EiEESD_Lm5ESE_iEENS8_INS9_ISB_SC_Lm4ESE_iEESI_SC_Lm5ESE_iEESJ_PSD_iiiiiiiii: ; @_ZN2at6native12_GLOBAL__N_128conv_depthwise3d_cuda_kernelIN3c104HalfEfLi3ELi3ELi3ELi1ELi1ELi1EEEvN5torch10headeronly6detail27GenericPackedTensorAccessorINS7_14TensorAccessorINS3_8ArrayRefIlEEKT_Lm4ENS6_16DefaultPtrTraitsEiEENS_6detail16IndexBoundsCheckILm5EiEESD_Lm5ESE_iEENS8_INS9_ISB_SC_Lm4ESE_iEESI_SC_Lm5ESE_iEESJ_PSD_iiiiiiiii
; %bb.0:
	s_load_dwordx4 s[28:31], s[4:5], 0xc
	s_load_dwordx4 s[36:39], s[4:5], 0x38
	s_load_dwordx2 s[34:35], s[4:5], 0x48
	s_load_dword s2, s[4:5], 0xcc
	v_mov_b32_e32 v1, 0
	s_waitcnt lgkmcnt(0)
	s_abs_i32 s3, s28
	v_cvt_f32_u32_e32 v2, s3
	s_add_u32 s0, s4, 0xc0
	v_mov_b32_e32 v3, s6
	s_mul_i32 s52, s35, s36
	v_rcp_iflag_f32_e32 v2, v2
	s_addc_u32 s1, s5, 0
	s_and_b32 s2, s2, 0xffff
	s_ashr_i32 s53, s52, 31
	v_mul_f32_e32 v2, 0x4f7ffffe, v2
	v_cvt_u32_f32_e32 v4, v2
	v_mad_u64_u32 v[2:3], s[8:9], s2, v3, v[0:1]
	v_cmp_gt_i64_e32 vcc, s[52:53], v[2:3]
	v_readfirstlane_b32 s7, v4
	s_and_saveexec_b64 s[8:9], vcc
	s_cbranch_execz .LBB6_59
; %bb.1:
	s_sub_i32 s9, 0, s3
	s_mul_i32 s9, s9, s7
	s_mul_hi_u32 s9, s7, s9
	s_ashr_i32 s8, s28, 31
	s_abs_i32 s28, s37
	s_add_i32 s7, s7, s9
	s_ashr_i32 s33, s37, 31
	s_mul_hi_u32 s7, s28, s7
	s_mul_hi_u32 s74, s2, s6
	s_mul_i32 s75, s2, s6
	s_xor_b32 s6, s33, s8
	s_mul_i32 s8, s7, s3
	s_sub_i32 s8, s28, s8
	s_add_i32 s9, s7, 1
	s_sub_i32 s10, s8, s3
	s_cmp_ge_u32 s8, s3
	s_cselect_b32 s7, s9, s7
	s_cselect_b32 s8, s10, s8
	s_add_i32 s9, s7, 1
	s_cmp_ge_u32 s8, s3
	s_cselect_b32 s3, s9, s7
	s_xor_b32 s3, s3, s6
	s_load_dwordx4 s[40:43], s[4:5], 0x98
	s_load_dwordx2 s[54:55], s[4:5], 0xa8
	s_sub_i32 s6, s3, s6
	s_load_dword s3, s[0:1], 0x0
	s_load_dwordx2 s[56:57], s[4:5], 0x90
	s_load_dword s76, s[4:5], 0x7c
	s_load_dwordx2 s[58:59], s[4:5], 0x0
	s_load_dwordx4 s[44:47], s[4:5], 0x1c
	s_load_dword s77, s[4:5], 0x2c
	s_load_dwordx2 s[60:61], s[4:5], 0x30
	s_add_i32 s0, s30, -3
	s_mul_i32 s0, s31, s0
	s_ashr_i32 s1, s0, 31
	s_waitcnt lgkmcnt(0)
	s_cmp_lg_u64 s[56:57], 0
	s_cselect_b64 s[62:63], -1, 0
	s_abs_i32 s78, s34
	v_cvt_f32_u32_e32 v2, s78
	s_abs_i32 s80, s39
	v_cvt_f32_u32_e32 v3, s80
	s_load_dwordx2 s[66:67], s[4:5], 0x60
	s_load_dwordx4 s[48:51], s[4:5], 0x50
	v_rcp_iflag_f32_e32 v2, v2
	s_sub_i32 s4, 0, s78
	v_rcp_iflag_f32_e32 v3, v3
	s_abs_i32 s82, s38
	v_mul_f32_e32 v2, 0x4f7ffffe, v2
	v_cvt_u32_f32_e32 v2, v2
	s_abs_i32 s85, s6
	v_cvt_f32_u32_e32 v5, s85
	s_mul_i32 s79, s3, s2
	v_mul_lo_u32 v4, s4, v2
	v_mul_hi_u32 v4, v2, v4
	v_add_u32_e32 v8, v2, v4
	v_mul_f32_e32 v2, 0x4f7ffffe, v3
	v_cvt_f32_u32_e32 v3, s82
	v_cvt_u32_f32_e32 v2, v2
	s_sub_i32 s4, 0, s80
	s_ashr_i32 s3, s31, 31
	v_rcp_iflag_f32_e32 v3, v3
	v_mul_lo_u32 v4, s4, v2
	v_mul_hi_u32 v4, v2, v4
	v_add_u32_e32 v9, v2, v4
	v_mul_f32_e32 v2, 0x4f7ffffe, v3
	v_cvt_u32_f32_e32 v2, v2
	v_cvt_f32_u32_e32 v3, s28
	s_sub_i32 s4, 0, s82
	s_mov_b32 s2, s31
	v_mul_lo_u32 v4, s4, v2
	v_rcp_iflag_f32_e32 v3, v3
	v_mul_hi_u32 v4, v2, v4
	v_add_u32_e32 v10, v2, v4
	v_rcp_iflag_f32_e32 v2, v5
	v_mul_f32_e32 v3, 0x4f7ffffe, v3
	v_cvt_u32_f32_e32 v3, v3
	s_sub_i32 s4, 0, s28
	v_mul_f32_e32 v2, 0x4f7ffffe, v2
	v_cvt_u32_f32_e32 v2, v2
	v_mul_lo_u32 v4, s4, v3
	v_mul_hi_u32 v4, v3, v4
	s_sub_i32 s4, 0, s85
	v_add_u32_e32 v11, v3, v4
	v_mul_lo_u32 v3, s4, v2
	v_mul_hi_u32 v3, v2, v3
	s_mov_b32 s36, 0
	s_mov_b64 s[64:65], 0
	s_ashr_i32 s81, s34, 31
	s_ashr_i32 s83, s39, 31
	;; [unrolled: 1-line block ×4, first 2 shown]
	v_add_u32_e32 v12, v2, v3
	s_waitcnt lgkmcnt(0)
	v_mov_b32_e32 v13, s67
	v_mov_b32_e32 v14, s59
	s_lshl_b64 s[68:69], s[2:3], 1
	s_lshl_b64 s[70:71], s[0:1], 1
	s_branch .LBB6_3
.LBB6_2:                                ;   in Loop: Header=BB6_3 Depth=1
	v_mul_lo_u32 v4, v18, s35
	v_ashrrev_i32_e32 v5, 31, v4
	v_lshlrev_b64 v[4:5], 1, v[4:5]
	v_mov_b32_e32 v3, s61
	v_add_co_u32_e32 v4, vcc, s60, v4
	v_mul_lo_u32 v2, s48, v2
	v_addc_co_u32_e32 v5, vcc, v3, v5, vcc
	v_ashrrev_i32_e32 v3, 31, v2
	v_lshlrev_b64 v[2:3], 1, v[2:3]
	v_add_co_u32_e32 v4, vcc, v4, v2
	v_mul_lo_u32 v2, s49, v17
	v_addc_co_u32_e32 v5, vcc, v5, v3, vcc
	v_ashrrev_i32_e32 v3, 31, v2
	v_lshlrev_b64 v[2:3], 1, v[2:3]
	;; [unrolled: 5-line block ×4, first 2 shown]
	v_add_co_u32_e32 v2, vcc, v4, v2
	v_addc_co_u32_e32 v3, vcc, v5, v3, vcc
	v_mov_b32_e32 v4, s36
	v_add_co_u32_e32 v0, vcc, s79, v0
	v_addc_co_u32_e32 v1, vcc, v1, v4, vcc
	v_cvt_f16_f32_e32 v6, v19
	v_mov_b32_e32 v5, s74
	v_add_co_u32_e32 v4, vcc, s75, v0
	v_addc_co_u32_e32 v5, vcc, v5, v1, vcc
	v_cmp_le_i64_e32 vcc, s[52:53], v[4:5]
	s_or_b64 s[64:65], vcc, s[64:65]
	global_store_short v[2:3], v6, off
	s_andn2_b64 exec, exec, s[64:65]
	s_cbranch_execz .LBB6_59
.LBB6_3:                                ; =>This Inner Loop Header: Depth=1
	v_add_u32_e32 v2, s75, v0
	v_sub_u32_e32 v4, 0, v2
	v_max_i32_e32 v4, v2, v4
	v_mul_hi_u32 v5, v4, v8
	v_mul_lo_u32 v6, v5, s78
	v_sub_u32_e32 v4, v4, v6
	v_add_u32_e32 v6, 1, v5
	v_cmp_le_u32_e32 vcc, s78, v4
	v_cndmask_b32_e32 v5, v5, v6, vcc
	v_subrev_u32_e32 v6, s78, v4
	v_cndmask_b32_e32 v4, v4, v6, vcc
	v_ashrrev_i32_e32 v3, 31, v2
	v_add_u32_e32 v6, 1, v5
	v_cmp_le_u32_e32 vcc, s78, v4
	v_xor_b32_e32 v3, s81, v3
	v_cndmask_b32_e32 v4, v5, v6, vcc
	v_xor_b32_e32 v4, v4, v3
	v_sub_u32_e32 v3, v4, v3
	v_mul_lo_u32 v4, v3, s34
	v_sub_u32_e32 v15, v2, v4
	v_sub_u32_e32 v4, 0, v3
	v_max_i32_e32 v4, v3, v4
	v_mul_hi_u32 v5, v4, v9
	v_mul_lo_u32 v6, v5, s80
	v_sub_u32_e32 v4, v4, v6
	v_add_u32_e32 v6, 1, v5
	v_cmp_le_u32_e32 vcc, s80, v4
	v_cndmask_b32_e32 v5, v5, v6, vcc
	v_subrev_u32_e32 v6, s80, v4
	v_cndmask_b32_e32 v4, v4, v6, vcc
	v_ashrrev_i32_e32 v2, 31, v3
	v_add_u32_e32 v6, 1, v5
	v_cmp_le_u32_e32 vcc, s80, v4
	v_xor_b32_e32 v2, s83, v2
	v_cndmask_b32_e32 v4, v5, v6, vcc
	v_xor_b32_e32 v4, v4, v2
	v_sub_u32_e32 v2, v4, v2
	v_mul_lo_u32 v4, v2, s39
	v_sub_u32_e32 v16, v3, v4
	;; [unrolled: 19-line block ×4, first 2 shown]
	v_sub_u32_e32 v5, 0, v2
	v_max_i32_e32 v5, v2, v5
	v_mul_hi_u32 v6, v5, v12
	v_mul_lo_u32 v7, v6, s85
	v_sub_u32_e32 v5, v5, v7
	v_add_u32_e32 v7, 1, v6
	v_cmp_le_u32_e32 vcc, s85, v5
	v_cndmask_b32_e32 v6, v6, v7, vcc
	v_subrev_u32_e32 v7, s85, v5
	v_cndmask_b32_e32 v5, v5, v7, vcc
	v_ashrrev_i32_e32 v3, 31, v2
	v_add_u32_e32 v7, 1, v6
	v_cmp_le_u32_e32 vcc, s85, v5
	v_xor_b32_e32 v4, s86, v3
	v_cndmask_b32_e32 v5, v6, v7, vcc
	v_xor_b32_e32 v5, v5, v4
	v_sub_u32_e32 v19, v5, v4
	v_mul_lo_u32 v4, v15, s42
	v_subrev_u32_e32 v22, s55, v4
	v_mul_lo_u32 v4, v16, s41
	v_subrev_u32_e32 v21, s54, v4
	;; [unrolled: 2-line block ×3, first 2 shown]
	v_mul_lo_u32 v4, s76, v2
	v_ashrrev_i32_e32 v5, 31, v4
	v_lshlrev_b64 v[4:5], 1, v[4:5]
	v_mul_lo_u32 v6, s44, v18
	v_add_co_u32_e32 v4, vcc, s66, v4
	v_ashrrev_i32_e32 v7, 31, v6
	v_addc_co_u32_e32 v5, vcc, v13, v5, vcc
	v_lshlrev_b64 v[6:7], 1, v[6:7]
	v_add_co_u32_e32 v23, vcc, s58, v6
	v_mul_lo_u32 v6, s45, v19
	v_addc_co_u32_e32 v24, vcc, v14, v7, vcc
	v_ashrrev_i32_e32 v7, 31, v6
	v_lshlrev_b64 v[6:7], 1, v[6:7]
	v_add_co_u32_e32 v19, vcc, v23, v6
	v_mul_lo_u32 v6, s46, v20
	v_addc_co_u32_e32 v23, vcc, v24, v7, vcc
	v_ashrrev_i32_e32 v7, 31, v6
	;; [unrolled: 5-line block ×4, first 2 shown]
	v_lshlrev_b64 v[6:7], 1, v[6:7]
	v_add_co_u32_e32 v6, vcc, v19, v6
	v_addc_co_u32_e32 v7, vcc, v23, v7, vcc
	v_cmp_lt_i32_e64 s[14:15], -1, v20
	v_cmp_lt_i32_e64 s[16:17], -1, v21
	s_and_b64 s[8:9], s[14:15], s[16:17]
	v_cmp_lt_i32_e32 vcc, -1, v22
	v_cmp_gt_i32_e64 s[22:23], s29, v20
	s_and_b64 s[0:1], s[8:9], vcc
	v_cmp_gt_i32_e64 s[10:11], s30, v21
	s_and_b64 s[0:1], s[0:1], s[22:23]
	s_and_b64 s[2:3], s[0:1], s[10:11]
	v_cmp_gt_i32_e64 s[0:1], s31, v22
	s_and_b64 s[4:5], s[2:3], s[0:1]
	v_mov_b32_e32 v19, 0
	s_and_saveexec_b64 s[2:3], s[4:5]
	s_cbranch_execz .LBB6_5
; %bb.4:                                ;   in Loop: Header=BB6_3 Depth=1
	global_load_ushort v19, v[4:5], off
	global_load_ushort v23, v[6:7], off
	s_waitcnt vmcnt(0)
	v_fma_mix_f32 v19, v19, v23, 0 op_sel_hi:[1,1,0]
.LBB6_5:                                ;   in Loop: Header=BB6_3 Depth=1
	s_or_b64 exec, exec, s[2:3]
	v_cmp_lt_i32_e64 s[2:3], -2, v22
	s_and_b64 s[4:5], s[8:9], s[2:3]
	v_add_u32_e32 v23, 1, v22
	s_and_b64 s[4:5], s[4:5], s[22:23]
	s_and_b64 s[6:7], s[4:5], s[10:11]
	v_cmp_gt_i32_e64 s[4:5], s31, v23
	s_and_b64 s[12:13], s[6:7], s[4:5]
	s_and_saveexec_b64 s[6:7], s[12:13]
	s_cbranch_execz .LBB6_7
; %bb.6:                                ;   in Loop: Header=BB6_3 Depth=1
	global_load_ushort v23, v[4:5], off offset:2
	global_load_ushort v24, v[6:7], off offset:2
	s_waitcnt vmcnt(0)
	v_fma_mix_f32 v19, v23, v24, v19 op_sel_hi:[1,1,0]
.LBB6_7:                                ;   in Loop: Header=BB6_3 Depth=1
	s_or_b64 exec, exec, s[6:7]
	v_cmp_lt_i32_e64 s[6:7], -3, v22
	s_and_b64 s[8:9], s[8:9], s[6:7]
	v_add_u32_e32 v23, 2, v22
	s_and_b64 s[8:9], s[8:9], s[22:23]
	s_and_b64 s[12:13], s[8:9], s[10:11]
	v_cmp_gt_i32_e64 s[8:9], s31, v23
	s_and_b64 s[18:19], s[12:13], s[8:9]
	s_and_saveexec_b64 s[12:13], s[18:19]
	s_cbranch_execz .LBB6_9
; %bb.8:                                ;   in Loop: Header=BB6_3 Depth=1
	global_load_ushort v22, v[4:5], off offset:4
	global_load_ushort v23, v[6:7], off offset:4
	s_waitcnt vmcnt(0)
	v_fma_mix_f32 v19, v22, v23, v19 op_sel_hi:[1,1,0]
.LBB6_9:                                ;   in Loop: Header=BB6_3 Depth=1
	s_or_b64 exec, exec, s[12:13]
	v_cmp_lt_i32_e64 s[18:19], -2, v21
	v_mov_b32_e32 v22, s69
	v_add_co_u32_e64 v6, s[12:13], s68, v6
	s_and_b64 s[20:21], s[14:15], s[18:19]
	v_addc_co_u32_e64 v7, s[12:13], v7, v22, s[12:13]
	v_add_u32_e32 v22, 1, v21
	s_and_b64 s[24:25], s[20:21], vcc
	v_cmp_gt_i32_e64 s[12:13], s30, v22
	s_and_b64 s[24:25], s[24:25], s[22:23]
	s_and_b64 s[24:25], s[24:25], s[12:13]
	;; [unrolled: 1-line block ×3, first 2 shown]
	s_and_saveexec_b64 s[24:25], s[26:27]
	s_cbranch_execz .LBB6_11
; %bb.10:                               ;   in Loop: Header=BB6_3 Depth=1
	global_load_ushort v22, v[4:5], off offset:6
	global_load_ushort v23, v[6:7], off
	s_waitcnt vmcnt(0)
	v_fma_mix_f32 v19, v22, v23, v19 op_sel_hi:[1,1,0]
.LBB6_11:                               ;   in Loop: Header=BB6_3 Depth=1
	s_or_b64 exec, exec, s[24:25]
	s_and_b64 s[24:25], s[20:21], s[2:3]
	s_and_b64 s[24:25], s[24:25], s[22:23]
	;; [unrolled: 1-line block ×4, first 2 shown]
	s_and_saveexec_b64 s[24:25], s[26:27]
	s_cbranch_execz .LBB6_13
; %bb.12:                               ;   in Loop: Header=BB6_3 Depth=1
	global_load_ushort v22, v[4:5], off offset:8
	global_load_ushort v23, v[6:7], off offset:2
	s_waitcnt vmcnt(0)
	v_fma_mix_f32 v19, v22, v23, v19 op_sel_hi:[1,1,0]
.LBB6_13:                               ;   in Loop: Header=BB6_3 Depth=1
	s_or_b64 exec, exec, s[24:25]
	s_and_b64 s[20:21], s[20:21], s[6:7]
	s_and_b64 s[20:21], s[20:21], s[22:23]
	;; [unrolled: 1-line block ×4, first 2 shown]
	s_and_saveexec_b64 s[20:21], s[24:25]
	s_cbranch_execz .LBB6_15
; %bb.14:                               ;   in Loop: Header=BB6_3 Depth=1
	global_load_ushort v22, v[4:5], off offset:10
	global_load_ushort v23, v[6:7], off offset:4
	s_waitcnt vmcnt(0)
	v_fma_mix_f32 v19, v22, v23, v19 op_sel_hi:[1,1,0]
.LBB6_15:                               ;   in Loop: Header=BB6_3 Depth=1
	s_or_b64 exec, exec, s[20:21]
	v_mov_b32_e32 v22, s69
	v_add_co_u32_e64 v6, s[20:21], s68, v6
	v_addc_co_u32_e64 v7, s[20:21], v7, v22, s[20:21]
	v_cmp_lt_i32_e64 s[20:21], -3, v21
	s_and_b64 s[24:25], s[14:15], s[20:21]
	v_add_u32_e32 v22, 2, v21
	s_and_b64 s[26:27], s[24:25], vcc
	v_cmp_gt_i32_e64 s[14:15], s30, v22
	s_and_b64 s[26:27], s[26:27], s[22:23]
	s_and_b64 s[26:27], s[26:27], s[14:15]
	;; [unrolled: 1-line block ×3, first 2 shown]
	s_and_saveexec_b64 s[26:27], s[72:73]
	s_cbranch_execz .LBB6_17
; %bb.16:                               ;   in Loop: Header=BB6_3 Depth=1
	global_load_ushort v21, v[4:5], off offset:12
	global_load_ushort v22, v[6:7], off
	s_waitcnt vmcnt(0)
	v_fma_mix_f32 v19, v21, v22, v19 op_sel_hi:[1,1,0]
.LBB6_17:                               ;   in Loop: Header=BB6_3 Depth=1
	s_or_b64 exec, exec, s[26:27]
	s_and_b64 s[26:27], s[24:25], s[2:3]
	s_and_b64 s[26:27], s[26:27], s[22:23]
	s_and_b64 s[26:27], s[26:27], s[14:15]
	s_and_b64 s[72:73], s[26:27], s[4:5]
	s_and_saveexec_b64 s[26:27], s[72:73]
	s_cbranch_execz .LBB6_19
; %bb.18:                               ;   in Loop: Header=BB6_3 Depth=1
	global_load_ushort v21, v[4:5], off offset:14
	global_load_ushort v22, v[6:7], off offset:2
	s_waitcnt vmcnt(0)
	v_fma_mix_f32 v19, v21, v22, v19 op_sel_hi:[1,1,0]
.LBB6_19:                               ;   in Loop: Header=BB6_3 Depth=1
	s_or_b64 exec, exec, s[26:27]
	s_and_b64 s[24:25], s[24:25], s[6:7]
	s_and_b64 s[22:23], s[24:25], s[22:23]
	;; [unrolled: 1-line block ×4, first 2 shown]
	s_and_saveexec_b64 s[22:23], s[24:25]
	s_cbranch_execz .LBB6_21
; %bb.20:                               ;   in Loop: Header=BB6_3 Depth=1
	global_load_ushort v21, v[4:5], off offset:16
	global_load_ushort v22, v[6:7], off offset:4
	s_waitcnt vmcnt(0)
	v_fma_mix_f32 v19, v21, v22, v19 op_sel_hi:[1,1,0]
.LBB6_21:                               ;   in Loop: Header=BB6_3 Depth=1
	s_or_b64 exec, exec, s[22:23]
	s_add_u32 s22, s70, s68
	s_addc_u32 s23, s71, s69
	v_mov_b32_e32 v21, s23
	v_add_co_u32_e64 v6, s[22:23], s22, v6
	v_cmp_lt_i32_e64 s[24:25], -2, v20
	v_addc_co_u32_e64 v7, s[22:23], v21, v7, s[22:23]
	v_add_u32_e32 v21, 1, v20
	s_and_b64 s[26:27], s[24:25], s[16:17]
	v_cmp_gt_i32_e64 s[22:23], s29, v21
	s_and_b64 s[72:73], s[26:27], vcc
	s_and_b64 s[72:73], s[72:73], s[22:23]
	s_and_b64 s[72:73], s[72:73], s[10:11]
	s_and_b64 s[88:89], s[72:73], s[0:1]
	s_and_saveexec_b64 s[72:73], s[88:89]
	s_cbranch_execz .LBB6_23
; %bb.22:                               ;   in Loop: Header=BB6_3 Depth=1
	global_load_ushort v21, v[4:5], off offset:18
	global_load_ushort v22, v[6:7], off
	s_waitcnt vmcnt(0)
	v_fma_mix_f32 v19, v21, v22, v19 op_sel_hi:[1,1,0]
.LBB6_23:                               ;   in Loop: Header=BB6_3 Depth=1
	s_or_b64 exec, exec, s[72:73]
	s_and_b64 s[72:73], s[26:27], s[2:3]
	s_and_b64 s[72:73], s[72:73], s[22:23]
	;; [unrolled: 1-line block ×4, first 2 shown]
	s_and_saveexec_b64 s[72:73], s[88:89]
	s_cbranch_execz .LBB6_25
; %bb.24:                               ;   in Loop: Header=BB6_3 Depth=1
	global_load_ushort v21, v[4:5], off offset:20
	global_load_ushort v22, v[6:7], off offset:2
	s_waitcnt vmcnt(0)
	v_fma_mix_f32 v19, v21, v22, v19 op_sel_hi:[1,1,0]
.LBB6_25:                               ;   in Loop: Header=BB6_3 Depth=1
	s_or_b64 exec, exec, s[72:73]
	s_and_b64 s[26:27], s[26:27], s[6:7]
	s_and_b64 s[26:27], s[26:27], s[22:23]
	;; [unrolled: 1-line block ×4, first 2 shown]
	s_and_saveexec_b64 s[26:27], s[72:73]
	s_cbranch_execz .LBB6_27
; %bb.26:                               ;   in Loop: Header=BB6_3 Depth=1
	global_load_ushort v21, v[4:5], off offset:22
	global_load_ushort v22, v[6:7], off offset:4
	s_waitcnt vmcnt(0)
	v_fma_mix_f32 v19, v21, v22, v19 op_sel_hi:[1,1,0]
.LBB6_27:                               ;   in Loop: Header=BB6_3 Depth=1
	s_or_b64 exec, exec, s[26:27]
	v_mov_b32_e32 v21, s69
	v_add_co_u32_e64 v6, s[26:27], s68, v6
	v_addc_co_u32_e64 v7, s[26:27], v7, v21, s[26:27]
	s_and_b64 s[26:27], s[24:25], s[18:19]
	s_and_b64 s[72:73], s[26:27], vcc
	s_and_b64 s[72:73], s[72:73], s[22:23]
	s_and_b64 s[72:73], s[72:73], s[12:13]
	;; [unrolled: 1-line block ×3, first 2 shown]
	s_and_saveexec_b64 s[72:73], s[88:89]
	s_cbranch_execz .LBB6_29
; %bb.28:                               ;   in Loop: Header=BB6_3 Depth=1
	global_load_ushort v21, v[4:5], off offset:24
	global_load_ushort v22, v[6:7], off
	s_waitcnt vmcnt(0)
	v_fma_mix_f32 v19, v21, v22, v19 op_sel_hi:[1,1,0]
.LBB6_29:                               ;   in Loop: Header=BB6_3 Depth=1
	s_or_b64 exec, exec, s[72:73]
	s_and_b64 s[72:73], s[26:27], s[2:3]
	s_and_b64 s[72:73], s[72:73], s[22:23]
	;; [unrolled: 1-line block ×4, first 2 shown]
	s_and_saveexec_b64 s[72:73], s[88:89]
	s_cbranch_execz .LBB6_31
; %bb.30:                               ;   in Loop: Header=BB6_3 Depth=1
	global_load_ushort v21, v[4:5], off offset:26
	global_load_ushort v22, v[6:7], off offset:2
	s_waitcnt vmcnt(0)
	v_fma_mix_f32 v19, v21, v22, v19 op_sel_hi:[1,1,0]
.LBB6_31:                               ;   in Loop: Header=BB6_3 Depth=1
	s_or_b64 exec, exec, s[72:73]
	s_and_b64 s[26:27], s[26:27], s[6:7]
	s_and_b64 s[26:27], s[26:27], s[22:23]
	;; [unrolled: 1-line block ×4, first 2 shown]
	s_and_saveexec_b64 s[26:27], s[72:73]
	s_cbranch_execz .LBB6_33
; %bb.32:                               ;   in Loop: Header=BB6_3 Depth=1
	global_load_ushort v21, v[4:5], off offset:28
	global_load_ushort v22, v[6:7], off offset:4
	s_waitcnt vmcnt(0)
	v_fma_mix_f32 v19, v21, v22, v19 op_sel_hi:[1,1,0]
.LBB6_33:                               ;   in Loop: Header=BB6_3 Depth=1
	s_or_b64 exec, exec, s[26:27]
	v_mov_b32_e32 v21, s69
	v_add_co_u32_e64 v6, s[26:27], s68, v6
	v_addc_co_u32_e64 v7, s[26:27], v7, v21, s[26:27]
	s_and_b64 s[24:25], s[24:25], s[20:21]
	s_and_b64 s[26:27], s[24:25], vcc
	s_and_b64 s[26:27], s[26:27], s[22:23]
	s_and_b64 s[26:27], s[26:27], s[14:15]
	;; [unrolled: 1-line block ×3, first 2 shown]
	s_and_saveexec_b64 s[26:27], s[72:73]
	s_cbranch_execz .LBB6_35
; %bb.34:                               ;   in Loop: Header=BB6_3 Depth=1
	global_load_ushort v21, v[4:5], off offset:30
	global_load_ushort v22, v[6:7], off
	s_waitcnt vmcnt(0)
	v_fma_mix_f32 v19, v21, v22, v19 op_sel_hi:[1,1,0]
.LBB6_35:                               ;   in Loop: Header=BB6_3 Depth=1
	s_or_b64 exec, exec, s[26:27]
	s_and_b64 s[26:27], s[24:25], s[2:3]
	s_and_b64 s[26:27], s[26:27], s[22:23]
	;; [unrolled: 1-line block ×4, first 2 shown]
	s_and_saveexec_b64 s[26:27], s[72:73]
	s_cbranch_execz .LBB6_37
; %bb.36:                               ;   in Loop: Header=BB6_3 Depth=1
	global_load_ushort v21, v[4:5], off offset:32
	global_load_ushort v22, v[6:7], off offset:2
	s_waitcnt vmcnt(0)
	v_fma_mix_f32 v19, v21, v22, v19 op_sel_hi:[1,1,0]
.LBB6_37:                               ;   in Loop: Header=BB6_3 Depth=1
	s_or_b64 exec, exec, s[26:27]
	s_and_b64 s[24:25], s[24:25], s[6:7]
	s_and_b64 s[22:23], s[24:25], s[22:23]
	;; [unrolled: 1-line block ×4, first 2 shown]
	s_and_saveexec_b64 s[22:23], s[24:25]
	s_cbranch_execz .LBB6_39
; %bb.38:                               ;   in Loop: Header=BB6_3 Depth=1
	global_load_ushort v21, v[4:5], off offset:34
	global_load_ushort v22, v[6:7], off offset:4
	s_waitcnt vmcnt(0)
	v_fma_mix_f32 v19, v21, v22, v19 op_sel_hi:[1,1,0]
.LBB6_39:                               ;   in Loop: Header=BB6_3 Depth=1
	s_or_b64 exec, exec, s[22:23]
	s_add_u32 s22, s70, s68
	s_addc_u32 s23, s71, s69
	v_mov_b32_e32 v21, s23
	v_add_co_u32_e64 v6, s[22:23], s22, v6
	v_cmp_lt_i32_e64 s[24:25], -3, v20
	v_addc_co_u32_e64 v7, s[22:23], v21, v7, s[22:23]
	v_add_u32_e32 v21, 2, v20
	s_and_b64 s[16:17], s[24:25], s[16:17]
	v_cmp_gt_i32_e64 s[22:23], s29, v21
	s_and_b64 s[26:27], s[16:17], vcc
	s_and_b64 s[26:27], s[26:27], s[22:23]
	s_and_b64 s[26:27], s[26:27], s[10:11]
	;; [unrolled: 1-line block ×3, first 2 shown]
	s_and_saveexec_b64 s[26:27], s[72:73]
	s_cbranch_execz .LBB6_41
; %bb.40:                               ;   in Loop: Header=BB6_3 Depth=1
	global_load_ushort v20, v[4:5], off offset:36
	global_load_ushort v21, v[6:7], off
	s_waitcnt vmcnt(0)
	v_fma_mix_f32 v19, v20, v21, v19 op_sel_hi:[1,1,0]
.LBB6_41:                               ;   in Loop: Header=BB6_3 Depth=1
	s_or_b64 exec, exec, s[26:27]
	s_and_b64 s[26:27], s[16:17], s[2:3]
	s_and_b64 s[26:27], s[26:27], s[22:23]
	;; [unrolled: 1-line block ×4, first 2 shown]
	s_and_saveexec_b64 s[26:27], s[72:73]
	s_cbranch_execz .LBB6_43
; %bb.42:                               ;   in Loop: Header=BB6_3 Depth=1
	global_load_ushort v20, v[4:5], off offset:38
	global_load_ushort v21, v[6:7], off offset:2
	s_waitcnt vmcnt(0)
	v_fma_mix_f32 v19, v20, v21, v19 op_sel_hi:[1,1,0]
.LBB6_43:                               ;   in Loop: Header=BB6_3 Depth=1
	s_or_b64 exec, exec, s[26:27]
	s_and_b64 s[16:17], s[16:17], s[6:7]
	s_and_b64 s[16:17], s[16:17], s[22:23]
	;; [unrolled: 1-line block ×4, first 2 shown]
	s_and_saveexec_b64 s[10:11], s[16:17]
	s_cbranch_execz .LBB6_45
; %bb.44:                               ;   in Loop: Header=BB6_3 Depth=1
	global_load_ushort v20, v[4:5], off offset:40
	global_load_ushort v21, v[6:7], off offset:4
	s_waitcnt vmcnt(0)
	v_fma_mix_f32 v19, v20, v21, v19 op_sel_hi:[1,1,0]
.LBB6_45:                               ;   in Loop: Header=BB6_3 Depth=1
	s_or_b64 exec, exec, s[10:11]
	v_mov_b32_e32 v20, s69
	v_add_co_u32_e64 v6, s[10:11], s68, v6
	v_addc_co_u32_e64 v7, s[10:11], v7, v20, s[10:11]
	s_and_b64 s[10:11], s[24:25], s[18:19]
	s_and_b64 s[16:17], s[10:11], vcc
	s_and_b64 s[16:17], s[16:17], s[22:23]
	s_and_b64 s[16:17], s[16:17], s[12:13]
	;; [unrolled: 1-line block ×3, first 2 shown]
	s_and_saveexec_b64 s[16:17], s[18:19]
	s_cbranch_execz .LBB6_47
; %bb.46:                               ;   in Loop: Header=BB6_3 Depth=1
	global_load_ushort v20, v[4:5], off offset:42
	global_load_ushort v21, v[6:7], off
	s_waitcnt vmcnt(0)
	v_fma_mix_f32 v19, v20, v21, v19 op_sel_hi:[1,1,0]
.LBB6_47:                               ;   in Loop: Header=BB6_3 Depth=1
	s_or_b64 exec, exec, s[16:17]
	s_and_b64 s[16:17], s[10:11], s[2:3]
	s_and_b64 s[16:17], s[16:17], s[22:23]
	;; [unrolled: 1-line block ×4, first 2 shown]
	s_and_saveexec_b64 s[16:17], s[18:19]
	s_cbranch_execz .LBB6_49
; %bb.48:                               ;   in Loop: Header=BB6_3 Depth=1
	global_load_ushort v20, v[4:5], off offset:44
	global_load_ushort v21, v[6:7], off offset:2
	s_waitcnt vmcnt(0)
	v_fma_mix_f32 v19, v20, v21, v19 op_sel_hi:[1,1,0]
.LBB6_49:                               ;   in Loop: Header=BB6_3 Depth=1
	s_or_b64 exec, exec, s[16:17]
	s_and_b64 s[10:11], s[10:11], s[6:7]
	s_and_b64 s[10:11], s[10:11], s[22:23]
	;; [unrolled: 1-line block ×4, first 2 shown]
	s_and_saveexec_b64 s[10:11], s[12:13]
	s_cbranch_execz .LBB6_51
; %bb.50:                               ;   in Loop: Header=BB6_3 Depth=1
	global_load_ushort v20, v[4:5], off offset:46
	global_load_ushort v21, v[6:7], off offset:4
	s_waitcnt vmcnt(0)
	v_fma_mix_f32 v19, v20, v21, v19 op_sel_hi:[1,1,0]
.LBB6_51:                               ;   in Loop: Header=BB6_3 Depth=1
	s_or_b64 exec, exec, s[10:11]
	v_mov_b32_e32 v20, s69
	v_add_co_u32_e64 v6, s[10:11], s68, v6
	v_addc_co_u32_e64 v7, s[10:11], v7, v20, s[10:11]
	s_and_b64 s[10:11], s[24:25], s[20:21]
	s_and_b64 s[12:13], s[10:11], vcc
	s_and_b64 s[12:13], s[12:13], s[22:23]
	s_and_b64 s[12:13], s[12:13], s[14:15]
	s_and_b64 s[12:13], s[12:13], s[0:1]
	s_and_saveexec_b64 s[0:1], s[12:13]
	s_cbranch_execz .LBB6_53
; %bb.52:                               ;   in Loop: Header=BB6_3 Depth=1
	global_load_ushort v20, v[4:5], off offset:48
	global_load_ushort v21, v[6:7], off
	s_waitcnt vmcnt(0)
	v_fma_mix_f32 v19, v20, v21, v19 op_sel_hi:[1,1,0]
.LBB6_53:                               ;   in Loop: Header=BB6_3 Depth=1
	s_or_b64 exec, exec, s[0:1]
	s_and_b64 s[0:1], s[10:11], s[2:3]
	s_and_b64 s[0:1], s[0:1], s[22:23]
	;; [unrolled: 1-line block ×4, first 2 shown]
	s_and_saveexec_b64 s[0:1], s[2:3]
	s_cbranch_execz .LBB6_55
; %bb.54:                               ;   in Loop: Header=BB6_3 Depth=1
	global_load_ushort v20, v[4:5], off offset:50
	global_load_ushort v21, v[6:7], off offset:2
	s_waitcnt vmcnt(0)
	v_fma_mix_f32 v19, v20, v21, v19 op_sel_hi:[1,1,0]
.LBB6_55:                               ;   in Loop: Header=BB6_3 Depth=1
	s_or_b64 exec, exec, s[0:1]
	s_and_b64 s[0:1], s[10:11], s[6:7]
	s_and_b64 s[0:1], s[0:1], s[22:23]
	;; [unrolled: 1-line block ×4, first 2 shown]
	s_and_saveexec_b64 s[0:1], s[2:3]
	s_cbranch_execz .LBB6_57
; %bb.56:                               ;   in Loop: Header=BB6_3 Depth=1
	global_load_ushort v4, v[4:5], off offset:52
	s_nop 0
	global_load_ushort v5, v[6:7], off offset:4
	s_waitcnt vmcnt(0)
	v_fma_mix_f32 v19, v4, v5, v19 op_sel_hi:[1,1,0]
.LBB6_57:                               ;   in Loop: Header=BB6_3 Depth=1
	s_or_b64 exec, exec, s[0:1]
	s_andn2_b64 vcc, exec, s[62:63]
	s_cbranch_vccnz .LBB6_2
; %bb.58:                               ;   in Loop: Header=BB6_3 Depth=1
	v_lshlrev_b64 v[4:5], 1, v[2:3]
	v_mov_b32_e32 v3, s57
	v_add_co_u32_e32 v4, vcc, s56, v4
	v_addc_co_u32_e32 v5, vcc, v3, v5, vcc
	global_load_ushort v3, v[4:5], off
	s_waitcnt vmcnt(0)
	v_cvt_f32_f16_e32 v3, v3
	v_add_f32_e32 v19, v19, v3
	s_branch .LBB6_2
.LBB6_59:
	s_endpgm
	.section	.rodata,"a",@progbits
	.p2align	6, 0x0
	.amdhsa_kernel _ZN2at6native12_GLOBAL__N_128conv_depthwise3d_cuda_kernelIN3c104HalfEfLi3ELi3ELi3ELi1ELi1ELi1EEEvN5torch10headeronly6detail27GenericPackedTensorAccessorINS7_14TensorAccessorINS3_8ArrayRefIlEEKT_Lm4ENS6_16DefaultPtrTraitsEiEENS_6detail16IndexBoundsCheckILm5EiEESD_Lm5ESE_iEENS8_INS9_ISB_SC_Lm4ESE_iEESI_SC_Lm5ESE_iEESJ_PSD_iiiiiiiii
		.amdhsa_group_segment_fixed_size 0
		.amdhsa_private_segment_fixed_size 0
		.amdhsa_kernarg_size 448
		.amdhsa_user_sgpr_count 6
		.amdhsa_user_sgpr_private_segment_buffer 1
		.amdhsa_user_sgpr_dispatch_ptr 0
		.amdhsa_user_sgpr_queue_ptr 0
		.amdhsa_user_sgpr_kernarg_segment_ptr 1
		.amdhsa_user_sgpr_dispatch_id 0
		.amdhsa_user_sgpr_flat_scratch_init 0
		.amdhsa_user_sgpr_kernarg_preload_length 0
		.amdhsa_user_sgpr_kernarg_preload_offset 0
		.amdhsa_user_sgpr_private_segment_size 0
		.amdhsa_uses_dynamic_stack 0
		.amdhsa_system_sgpr_private_segment_wavefront_offset 0
		.amdhsa_system_sgpr_workgroup_id_x 1
		.amdhsa_system_sgpr_workgroup_id_y 0
		.amdhsa_system_sgpr_workgroup_id_z 0
		.amdhsa_system_sgpr_workgroup_info 0
		.amdhsa_system_vgpr_workitem_id 0
		.amdhsa_next_free_vgpr 25
		.amdhsa_next_free_sgpr 90
		.amdhsa_accum_offset 28
		.amdhsa_reserve_vcc 1
		.amdhsa_reserve_flat_scratch 0
		.amdhsa_float_round_mode_32 0
		.amdhsa_float_round_mode_16_64 0
		.amdhsa_float_denorm_mode_32 3
		.amdhsa_float_denorm_mode_16_64 3
		.amdhsa_dx10_clamp 1
		.amdhsa_ieee_mode 1
		.amdhsa_fp16_overflow 0
		.amdhsa_tg_split 0
		.amdhsa_exception_fp_ieee_invalid_op 0
		.amdhsa_exception_fp_denorm_src 0
		.amdhsa_exception_fp_ieee_div_zero 0
		.amdhsa_exception_fp_ieee_overflow 0
		.amdhsa_exception_fp_ieee_underflow 0
		.amdhsa_exception_fp_ieee_inexact 0
		.amdhsa_exception_int_div_zero 0
	.end_amdhsa_kernel
	.section	.text._ZN2at6native12_GLOBAL__N_128conv_depthwise3d_cuda_kernelIN3c104HalfEfLi3ELi3ELi3ELi1ELi1ELi1EEEvN5torch10headeronly6detail27GenericPackedTensorAccessorINS7_14TensorAccessorINS3_8ArrayRefIlEEKT_Lm4ENS6_16DefaultPtrTraitsEiEENS_6detail16IndexBoundsCheckILm5EiEESD_Lm5ESE_iEENS8_INS9_ISB_SC_Lm4ESE_iEESI_SC_Lm5ESE_iEESJ_PSD_iiiiiiiii,"axG",@progbits,_ZN2at6native12_GLOBAL__N_128conv_depthwise3d_cuda_kernelIN3c104HalfEfLi3ELi3ELi3ELi1ELi1ELi1EEEvN5torch10headeronly6detail27GenericPackedTensorAccessorINS7_14TensorAccessorINS3_8ArrayRefIlEEKT_Lm4ENS6_16DefaultPtrTraitsEiEENS_6detail16IndexBoundsCheckILm5EiEESD_Lm5ESE_iEENS8_INS9_ISB_SC_Lm4ESE_iEESI_SC_Lm5ESE_iEESJ_PSD_iiiiiiiii,comdat
.Lfunc_end6:
	.size	_ZN2at6native12_GLOBAL__N_128conv_depthwise3d_cuda_kernelIN3c104HalfEfLi3ELi3ELi3ELi1ELi1ELi1EEEvN5torch10headeronly6detail27GenericPackedTensorAccessorINS7_14TensorAccessorINS3_8ArrayRefIlEEKT_Lm4ENS6_16DefaultPtrTraitsEiEENS_6detail16IndexBoundsCheckILm5EiEESD_Lm5ESE_iEENS8_INS9_ISB_SC_Lm4ESE_iEESI_SC_Lm5ESE_iEESJ_PSD_iiiiiiiii, .Lfunc_end6-_ZN2at6native12_GLOBAL__N_128conv_depthwise3d_cuda_kernelIN3c104HalfEfLi3ELi3ELi3ELi1ELi1ELi1EEEvN5torch10headeronly6detail27GenericPackedTensorAccessorINS7_14TensorAccessorINS3_8ArrayRefIlEEKT_Lm4ENS6_16DefaultPtrTraitsEiEENS_6detail16IndexBoundsCheckILm5EiEESD_Lm5ESE_iEENS8_INS9_ISB_SC_Lm4ESE_iEESI_SC_Lm5ESE_iEESJ_PSD_iiiiiiiii
                                        ; -- End function
	.section	.AMDGPU.csdata,"",@progbits
; Kernel info:
; codeLenInByte = 3404
; NumSgprs: 94
; NumVgprs: 25
; NumAgprs: 0
; TotalNumVgprs: 25
; ScratchSize: 0
; MemoryBound: 0
; FloatMode: 240
; IeeeMode: 1
; LDSByteSize: 0 bytes/workgroup (compile time only)
; SGPRBlocks: 11
; VGPRBlocks: 3
; NumSGPRsForWavesPerEU: 94
; NumVGPRsForWavesPerEU: 25
; AccumOffset: 28
; Occupancy: 8
; WaveLimiterHint : 0
; COMPUTE_PGM_RSRC2:SCRATCH_EN: 0
; COMPUTE_PGM_RSRC2:USER_SGPR: 6
; COMPUTE_PGM_RSRC2:TRAP_HANDLER: 0
; COMPUTE_PGM_RSRC2:TGID_X_EN: 1
; COMPUTE_PGM_RSRC2:TGID_Y_EN: 0
; COMPUTE_PGM_RSRC2:TGID_Z_EN: 0
; COMPUTE_PGM_RSRC2:TIDIG_COMP_CNT: 0
; COMPUTE_PGM_RSRC3_GFX90A:ACCUM_OFFSET: 6
; COMPUTE_PGM_RSRC3_GFX90A:TG_SPLIT: 0
	.section	.text._ZN2at6native12_GLOBAL__N_128conv_depthwise3d_cuda_kernelIN3c104HalfEfLin1ELin1ELin1ELi1ELi1ELi1EEEvN5torch10headeronly6detail27GenericPackedTensorAccessorINS7_14TensorAccessorINS3_8ArrayRefIlEEKT_Lm4ENS6_16DefaultPtrTraitsEiEENS_6detail16IndexBoundsCheckILm5EiEESD_Lm5ESE_iEENS8_INS9_ISB_SC_Lm4ESE_iEESI_SC_Lm5ESE_iEESJ_PSD_iiiiiiiii,"axG",@progbits,_ZN2at6native12_GLOBAL__N_128conv_depthwise3d_cuda_kernelIN3c104HalfEfLin1ELin1ELin1ELi1ELi1ELi1EEEvN5torch10headeronly6detail27GenericPackedTensorAccessorINS7_14TensorAccessorINS3_8ArrayRefIlEEKT_Lm4ENS6_16DefaultPtrTraitsEiEENS_6detail16IndexBoundsCheckILm5EiEESD_Lm5ESE_iEENS8_INS9_ISB_SC_Lm4ESE_iEESI_SC_Lm5ESE_iEESJ_PSD_iiiiiiiii,comdat
	.globl	_ZN2at6native12_GLOBAL__N_128conv_depthwise3d_cuda_kernelIN3c104HalfEfLin1ELin1ELin1ELi1ELi1ELi1EEEvN5torch10headeronly6detail27GenericPackedTensorAccessorINS7_14TensorAccessorINS3_8ArrayRefIlEEKT_Lm4ENS6_16DefaultPtrTraitsEiEENS_6detail16IndexBoundsCheckILm5EiEESD_Lm5ESE_iEENS8_INS9_ISB_SC_Lm4ESE_iEESI_SC_Lm5ESE_iEESJ_PSD_iiiiiiiii ; -- Begin function _ZN2at6native12_GLOBAL__N_128conv_depthwise3d_cuda_kernelIN3c104HalfEfLin1ELin1ELin1ELi1ELi1ELi1EEEvN5torch10headeronly6detail27GenericPackedTensorAccessorINS7_14TensorAccessorINS3_8ArrayRefIlEEKT_Lm4ENS6_16DefaultPtrTraitsEiEENS_6detail16IndexBoundsCheckILm5EiEESD_Lm5ESE_iEENS8_INS9_ISB_SC_Lm4ESE_iEESI_SC_Lm5ESE_iEESJ_PSD_iiiiiiiii
	.p2align	8
	.type	_ZN2at6native12_GLOBAL__N_128conv_depthwise3d_cuda_kernelIN3c104HalfEfLin1ELin1ELin1ELi1ELi1ELi1EEEvN5torch10headeronly6detail27GenericPackedTensorAccessorINS7_14TensorAccessorINS3_8ArrayRefIlEEKT_Lm4ENS6_16DefaultPtrTraitsEiEENS_6detail16IndexBoundsCheckILm5EiEESD_Lm5ESE_iEENS8_INS9_ISB_SC_Lm4ESE_iEESI_SC_Lm5ESE_iEESJ_PSD_iiiiiiiii,@function
_ZN2at6native12_GLOBAL__N_128conv_depthwise3d_cuda_kernelIN3c104HalfEfLin1ELin1ELin1ELi1ELi1ELi1EEEvN5torch10headeronly6detail27GenericPackedTensorAccessorINS7_14TensorAccessorINS3_8ArrayRefIlEEKT_Lm4ENS6_16DefaultPtrTraitsEiEENS_6detail16IndexBoundsCheckILm5EiEESD_Lm5ESE_iEENS8_INS9_ISB_SC_Lm4ESE_iEESI_SC_Lm5ESE_iEESJ_PSD_iiiiiiiii: ; @_ZN2at6native12_GLOBAL__N_128conv_depthwise3d_cuda_kernelIN3c104HalfEfLin1ELin1ELin1ELi1ELi1ELi1EEEvN5torch10headeronly6detail27GenericPackedTensorAccessorINS7_14TensorAccessorINS3_8ArrayRefIlEEKT_Lm4ENS6_16DefaultPtrTraitsEiEENS_6detail16IndexBoundsCheckILm5EiEESD_Lm5ESE_iEENS8_INS9_ISB_SC_Lm4ESE_iEESI_SC_Lm5ESE_iEESJ_PSD_iiiiiiiii
; %bb.0:
	s_load_dwordx4 s[8:11], s[4:5], 0xc
	s_load_dwordx4 s[12:15], s[4:5], 0x38
	s_load_dwordx2 s[34:35], s[4:5], 0x48
	s_load_dword s2, s[4:5], 0xcc
	v_mov_b32_e32 v1, 0
	s_waitcnt lgkmcnt(0)
	s_abs_i32 s3, s8
	v_cvt_f32_u32_e32 v2, s3
	s_add_u32 s0, s4, 0xc0
	v_mov_b32_e32 v3, s6
	s_mul_i32 s6, s35, s12
	v_rcp_iflag_f32_e32 v2, v2
	s_addc_u32 s1, s5, 0
	s_and_b32 s2, s2, 0xffff
	v_mad_u64_u32 v[0:1], s[16:17], s2, v3, v[0:1]
	v_mul_f32_e32 v2, 0x4f7ffffe, v2
	v_cvt_u32_f32_e32 v2, v2
	s_ashr_i32 s7, s6, 31
	v_cmp_gt_i64_e32 vcc, s[6:7], v[0:1]
	v_readfirstlane_b32 s16, v2
	s_and_saveexec_b64 s[18:19], vcc
	s_cbranch_execz .LBB7_17
; %bb.1:
	s_sub_i32 s17, 0, s3
	s_mul_i32 s17, s17, s16
	s_mul_hi_u32 s17, s16, s17
	s_ashr_i32 s20, s8, 31
	s_abs_i32 s8, s13
	s_add_i32 s16, s16, s17
	s_mul_hi_u32 s21, s8, s16
	s_mul_i32 s22, s21, s3
	s_ashr_i32 s12, s13, 31
	s_sub_i32 s22, s8, s22
	s_xor_b32 s20, s12, s20
	s_add_i32 s23, s21, 1
	s_sub_i32 s24, s22, s3
	s_cmp_ge_u32 s22, s3
	s_cselect_b32 s21, s23, s21
	s_cselect_b32 s22, s24, s22
	s_add_i32 s23, s21, 1
	s_cmp_ge_u32 s22, s3
	s_cselect_b32 s3, s23, s21
	s_xor_b32 s3, s3, s20
	s_load_dwordx2 s[36:37], s[4:5], 0x90
	s_load_dwordx4 s[16:19], s[4:5], 0x98
	s_load_dwordx2 s[38:39], s[4:5], 0xa8
	s_sub_i32 s3, s3, s20
	s_load_dwordx4 s[20:23], s[4:5], 0x70
	s_load_dword s56, s[0:1], 0x0
                                        ; kill: killed $sgpr0 killed $sgpr1
	s_waitcnt lgkmcnt(0)
	s_load_dword s23, s[4:5], 0x7c
	s_load_dwordx2 s[40:41], s[4:5], 0x0
	s_load_dwordx4 s[24:27], s[4:5], 0x1c
	s_load_dword s63, s[4:5], 0x2c
	s_load_dwordx2 s[50:51], s[4:5], 0x30
	s_mov_b32 s33, 0
	s_cmp_gt_i32 s20, 0
	s_cselect_b64 s[42:43], -1, 0
	s_cmp_gt_i32 s21, 0
	s_cselect_b64 s[44:45], -1, 0
	;; [unrolled: 2-line block ×3, first 2 shown]
	s_sub_i32 s28, s10, s21
	s_sub_i32 s0, s11, s22
	s_mul_i32 s58, s11, s28
	s_ashr_i32 s1, s0, 31
	s_ashr_i32 s59, s58, 31
	s_cmp_lg_u64 s[36:37], 0
	s_cselect_b64 s[48:49], -1, 0
	s_abs_i32 s62, s34
	v_cvt_f32_u32_e32 v2, s62
	s_abs_i32 s65, s15
	v_cvt_f32_u32_e32 v3, s65
	s_mul_i32 s64, s56, s2
	v_rcp_iflag_f32_e32 v2, v2
	s_sub_i32 s2, 0, s62
	v_rcp_iflag_f32_e32 v3, v3
	s_abs_i32 s67, s14
	v_mul_f32_e32 v2, 0x4f7ffffe, v2
	v_cvt_u32_f32_e32 v2, v2
	s_abs_i32 s70, s3
	v_cvt_f32_u32_e32 v5, s70
	s_load_dwordx2 s[54:55], s[4:5], 0x60
	s_load_dwordx4 s[28:31], s[4:5], 0x50
	v_mul_lo_u32 v4, s2, v2
	v_mul_hi_u32 v4, v2, v4
	v_add_u32_e32 v8, v2, v4
	v_mul_f32_e32 v2, 0x4f7ffffe, v3
	v_cvt_f32_u32_e32 v3, s67
	v_cvt_u32_f32_e32 v2, v2
	s_sub_i32 s2, 0, s65
	s_mov_b64 s[52:53], 0
	v_rcp_iflag_f32_e32 v3, v3
	v_mul_lo_u32 v4, s2, v2
	v_mul_hi_u32 v4, v2, v4
	v_add_u32_e32 v9, v2, v4
	v_mul_f32_e32 v2, 0x4f7ffffe, v3
	v_cvt_u32_f32_e32 v2, v2
	v_cvt_f32_u32_e32 v3, s8
	s_sub_i32 s2, 0, s67
	s_ashr_i32 s66, s34, 31
	v_mul_lo_u32 v4, s2, v2
	v_rcp_iflag_f32_e32 v3, v3
	v_mul_hi_u32 v4, v2, v4
	v_add_u32_e32 v10, v2, v4
	v_rcp_iflag_f32_e32 v2, v5
	v_mul_f32_e32 v3, 0x4f7ffffe, v3
	v_cvt_u32_f32_e32 v3, v3
	s_sub_i32 s2, 0, s8
	v_mul_f32_e32 v2, 0x4f7ffffe, v2
	v_cvt_u32_f32_e32 v2, v2
	v_mul_lo_u32 v4, s2, v3
	v_mul_hi_u32 v4, v3, v4
	s_sub_i32 s2, 0, s70
	v_add_u32_e32 v11, v3, v4
	v_mul_lo_u32 v3, s2, v2
	v_mul_hi_u32 v3, v2, v3
	s_ashr_i32 s68, s15, 31
	s_ashr_i32 s69, s14, 31
	;; [unrolled: 1-line block ×3, first 2 shown]
	v_add_u32_e32 v12, v2, v3
	s_lshl_b64 s[56:57], s[0:1], 1
	s_lshl_b64 s[58:59], s[58:59], 1
	s_branch .LBB7_3
.LBB7_2:                                ;   in Loop: Header=BB7_3 Depth=1
	v_mul_lo_u32 v4, v16, s35
	v_ashrrev_i32_e32 v5, 31, v4
	v_lshlrev_b64 v[4:5], 1, v[4:5]
	s_waitcnt lgkmcnt(0)
	v_mov_b32_e32 v3, s51
	v_add_co_u32_e32 v4, vcc, s50, v4
	v_mul_lo_u32 v2, s28, v2
	v_addc_co_u32_e32 v5, vcc, v3, v5, vcc
	v_ashrrev_i32_e32 v3, 31, v2
	v_lshlrev_b64 v[2:3], 1, v[2:3]
	v_add_co_u32_e32 v4, vcc, v4, v2
	v_mul_lo_u32 v2, s29, v15
	v_addc_co_u32_e32 v5, vcc, v5, v3, vcc
	v_ashrrev_i32_e32 v3, 31, v2
	v_lshlrev_b64 v[2:3], 1, v[2:3]
	;; [unrolled: 5-line block ×4, first 2 shown]
	v_add_co_u32_e32 v2, vcc, v4, v2
	v_addc_co_u32_e32 v3, vcc, v5, v3, vcc
	v_cvt_f16_f32_e32 v6, v20
	v_mov_b32_e32 v4, s33
	v_add_co_u32_e32 v0, vcc, s64, v0
	v_addc_co_u32_e32 v1, vcc, v1, v4, vcc
	v_cmp_le_i64_e32 vcc, s[6:7], v[0:1]
	s_or_b64 s[52:53], vcc, s[52:53]
	global_store_short v[2:3], v6, off
	s_andn2_b64 exec, exec, s[52:53]
	s_cbranch_execz .LBB7_17
.LBB7_3:                                ; =>This Loop Header: Depth=1
                                        ;     Child Loop BB7_6 Depth 2
                                        ;       Child Loop BB7_9 Depth 3
                                        ;         Child Loop BB7_12 Depth 4
	v_sub_u32_e32 v3, 0, v0
	v_max_i32_e32 v3, v0, v3
	v_mul_hi_u32 v4, v3, v8
	v_mul_lo_u32 v5, v4, s62
	v_sub_u32_e32 v3, v3, v5
	v_add_u32_e32 v5, 1, v4
	v_cmp_le_u32_e32 vcc, s62, v3
	v_cndmask_b32_e32 v4, v4, v5, vcc
	v_subrev_u32_e32 v5, s62, v3
	v_cndmask_b32_e32 v3, v3, v5, vcc
	v_ashrrev_i32_e32 v2, 31, v0
	v_add_u32_e32 v5, 1, v4
	v_cmp_le_u32_e32 vcc, s62, v3
	v_xor_b32_e32 v2, s66, v2
	v_cndmask_b32_e32 v3, v4, v5, vcc
	v_xor_b32_e32 v3, v3, v2
	v_sub_u32_e32 v2, v3, v2
	v_sub_u32_e32 v4, 0, v2
	v_max_i32_e32 v4, v2, v4
	v_mul_hi_u32 v5, v4, v9
	v_mul_lo_u32 v6, v5, s65
	v_sub_u32_e32 v4, v4, v6
	v_add_u32_e32 v6, 1, v5
	v_cmp_le_u32_e32 vcc, s65, v4
	v_cndmask_b32_e32 v5, v5, v6, vcc
	v_subrev_u32_e32 v6, s65, v4
	v_mul_lo_u32 v3, v2, s34
	v_cndmask_b32_e32 v4, v4, v6, vcc
	v_sub_u32_e32 v13, v0, v3
	v_ashrrev_i32_e32 v3, 31, v2
	v_add_u32_e32 v6, 1, v5
	v_cmp_le_u32_e32 vcc, s65, v4
	v_xor_b32_e32 v3, s68, v3
	v_cndmask_b32_e32 v4, v5, v6, vcc
	v_xor_b32_e32 v4, v4, v3
	v_sub_u32_e32 v3, v4, v3
	v_mul_lo_u32 v4, v3, s15
	v_sub_u32_e32 v14, v2, v4
	v_sub_u32_e32 v4, 0, v3
	v_max_i32_e32 v4, v3, v4
	v_mul_hi_u32 v5, v4, v10
	v_mul_lo_u32 v6, v5, s67
	v_sub_u32_e32 v4, v4, v6
	v_add_u32_e32 v6, 1, v5
	v_cmp_le_u32_e32 vcc, s67, v4
	v_cndmask_b32_e32 v5, v5, v6, vcc
	v_subrev_u32_e32 v6, s67, v4
	v_cndmask_b32_e32 v4, v4, v6, vcc
	v_ashrrev_i32_e32 v2, 31, v3
	v_add_u32_e32 v6, 1, v5
	v_cmp_le_u32_e32 vcc, s67, v4
	v_xor_b32_e32 v2, s69, v2
	v_cndmask_b32_e32 v4, v5, v6, vcc
	v_xor_b32_e32 v4, v4, v2
	v_sub_u32_e32 v2, v4, v2
	v_mul_lo_u32 v4, v2, s14
	v_sub_u32_e32 v15, v3, v4
	v_sub_u32_e32 v4, 0, v2
	v_max_i32_e32 v4, v2, v4
	v_mul_hi_u32 v5, v4, v11
	v_mul_lo_u32 v6, v5, s8
	v_sub_u32_e32 v4, v4, v6
	v_add_u32_e32 v6, 1, v5
	v_cmp_le_u32_e32 vcc, s8, v4
	v_cndmask_b32_e32 v5, v5, v6, vcc
	v_subrev_u32_e32 v6, s8, v4
	v_cndmask_b32_e32 v4, v4, v6, vcc
	v_ashrrev_i32_e32 v3, 31, v2
	v_add_u32_e32 v6, 1, v5
	v_cmp_le_u32_e32 vcc, s8, v4
	v_xor_b32_e32 v3, s12, v3
	v_cndmask_b32_e32 v4, v5, v6, vcc
	v_xor_b32_e32 v4, v4, v3
	v_sub_u32_e32 v16, v4, v3
	v_mul_lo_u32 v3, v16, s13
	v_sub_u32_e32 v2, v2, v3
	s_andn2_b64 vcc, exec, s[42:43]
	v_ashrrev_i32_e32 v3, 31, v2
	s_cbranch_vccnz .LBB7_14
; %bb.4:                                ;   in Loop: Header=BB7_3 Depth=1
	v_mul_lo_u32 v4, v13, s18
	v_subrev_u32_e32 v17, s39, v4
	v_mul_lo_u32 v4, v14, s17
	v_subrev_u32_e32 v18, s38, v4
	;; [unrolled: 2-line block ×3, first 2 shown]
	s_waitcnt lgkmcnt(0)
	v_mul_lo_u32 v4, s24, v16
	v_ashrrev_i32_e32 v5, 31, v4
	v_lshlrev_b64 v[4:5], 1, v[4:5]
	v_mov_b32_e32 v6, s41
	v_add_co_u32_e32 v7, vcc, s40, v4
	v_addc_co_u32_e32 v6, vcc, v6, v5, vcc
	v_sub_u32_e32 v5, 0, v2
	v_max_i32_e32 v5, v2, v5
	v_mul_hi_u32 v20, v5, v12
	v_mul_lo_u32 v21, v20, s70
	v_sub_u32_e32 v5, v5, v21
	v_add_u32_e32 v21, 1, v20
	v_cmp_le_u32_e32 vcc, s70, v5
	v_cndmask_b32_e32 v20, v20, v21, vcc
	v_subrev_u32_e32 v21, s70, v5
	v_cndmask_b32_e32 v5, v5, v21, vcc
	v_add_u32_e32 v21, 1, v20
	v_cmp_le_u32_e32 vcc, s70, v5
	v_xor_b32_e32 v4, s71, v3
	v_cndmask_b32_e32 v5, v20, v21, vcc
	v_xor_b32_e32 v5, v5, v4
	v_sub_u32_e32 v4, v5, v4
	v_mul_lo_u32 v4, s25, v4
	v_ashrrev_i32_e32 v5, 31, v4
	v_lshlrev_b64 v[4:5], 1, v[4:5]
	v_add_co_u32_e32 v7, vcc, v7, v4
	v_mul_lo_u32 v4, s26, v19
	v_addc_co_u32_e32 v6, vcc, v6, v5, vcc
	v_ashrrev_i32_e32 v5, 31, v4
	v_lshlrev_b64 v[4:5], 1, v[4:5]
	v_add_co_u32_e32 v7, vcc, v7, v4
	v_mul_lo_u32 v4, s27, v18
	v_addc_co_u32_e32 v6, vcc, v6, v5, vcc
	;; [unrolled: 5-line block ×3, first 2 shown]
	v_ashrrev_i32_e32 v5, 31, v4
	v_lshlrev_b64 v[4:5], 1, v[4:5]
	v_add_co_u32_e32 v4, vcc, v7, v4
	v_addc_co_u32_e32 v5, vcc, v6, v5, vcc
	v_mul_lo_u32 v6, s23, v2
	v_ashrrev_i32_e32 v7, 31, v6
	v_lshlrev_b64 v[6:7], 1, v[6:7]
	v_mov_b32_e32 v20, s55
	v_add_co_u32_e32 v6, vcc, s54, v6
	s_mov_b32 s72, 0
	v_addc_co_u32_e32 v7, vcc, v20, v7, vcc
	v_mov_b32_e32 v20, 0
	s_branch .LBB7_6
.LBB7_5:                                ;   in Loop: Header=BB7_6 Depth=2
	v_mov_b32_e32 v21, s59
	s_add_i32 s72, s72, 1
	v_add_co_u32_e32 v4, vcc, s58, v4
	s_cmp_eq_u32 s72, s20
	v_addc_co_u32_e32 v5, vcc, v5, v21, vcc
	s_cbranch_scc1 .LBB7_15
.LBB7_6:                                ;   Parent Loop BB7_3 Depth=1
                                        ; =>  This Loop Header: Depth=2
                                        ;       Child Loop BB7_9 Depth 3
                                        ;         Child Loop BB7_12 Depth 4
	s_andn2_b64 vcc, exec, s[44:45]
	s_cbranch_vccnz .LBB7_5
; %bb.7:                                ;   in Loop: Header=BB7_6 Depth=2
	v_add_u32_e32 v21, s72, v19
	v_cmp_lt_i32_e64 s[0:1], -1, v21
	v_cmp_gt_i32_e64 s[2:3], s9, v21
	s_mov_b32 s73, 0
	s_branch .LBB7_9
.LBB7_8:                                ;   in Loop: Header=BB7_9 Depth=3
	v_mov_b32_e32 v21, s57
	s_add_i32 s73, s73, 1
	v_add_co_u32_e32 v4, vcc, s56, v4
	s_cmp_eq_u32 s73, s21
	v_addc_co_u32_e32 v5, vcc, v5, v21, vcc
	s_cbranch_scc1 .LBB7_5
.LBB7_9:                                ;   Parent Loop BB7_3 Depth=1
                                        ;     Parent Loop BB7_6 Depth=2
                                        ; =>    This Loop Header: Depth=3
                                        ;         Child Loop BB7_12 Depth 4
	s_andn2_b64 vcc, exec, s[46:47]
	s_cbranch_vccnz .LBB7_8
; %bb.10:                               ;   in Loop: Header=BB7_9 Depth=3
	v_add_u32_e32 v21, s73, v18
	v_cmp_lt_i32_e32 vcc, -1, v21
	s_and_b64 s[60:61], s[0:1], vcc
	v_cmp_gt_i32_e32 vcc, s10, v21
	v_mov_b32_e32 v21, v17
	s_mov_b32 s74, s22
	s_branch .LBB7_12
.LBB7_11:                               ;   in Loop: Header=BB7_12 Depth=4
	s_or_b64 exec, exec, s[4:5]
	v_add_co_u32_e64 v6, s[4:5], 2, v6
	v_addc_co_u32_e64 v7, s[4:5], 0, v7, s[4:5]
	v_add_co_u32_e64 v4, s[4:5], 2, v4
	s_add_i32 s74, s74, -1
	v_addc_co_u32_e64 v5, s[4:5], 0, v5, s[4:5]
	s_cmp_eq_u32 s74, 0
	v_add_u32_e32 v21, 1, v21
	s_cbranch_scc1 .LBB7_8
.LBB7_12:                               ;   Parent Loop BB7_3 Depth=1
                                        ;     Parent Loop BB7_6 Depth=2
                                        ;       Parent Loop BB7_9 Depth=3
                                        ; =>      This Inner Loop Header: Depth=4
	v_cmp_lt_i32_e64 s[4:5], -1, v21
	s_and_b64 s[4:5], s[60:61], s[4:5]
	s_and_b64 s[4:5], s[4:5], s[2:3]
	s_and_b64 s[76:77], s[4:5], vcc
	v_cmp_gt_i32_e64 s[4:5], s11, v21
	s_and_b64 s[76:77], s[76:77], s[4:5]
	s_and_saveexec_b64 s[4:5], s[76:77]
	s_cbranch_execz .LBB7_11
; %bb.13:                               ;   in Loop: Header=BB7_12 Depth=4
	global_load_ushort v22, v[6:7], off
	global_load_ushort v23, v[4:5], off
	s_waitcnt vmcnt(0)
	v_fma_mix_f32 v20, v22, v23, v20 op_sel_hi:[1,1,0]
	s_branch .LBB7_11
.LBB7_14:                               ;   in Loop: Header=BB7_3 Depth=1
	v_mov_b32_e32 v20, 0
.LBB7_15:                               ;   in Loop: Header=BB7_3 Depth=1
	s_and_b64 vcc, exec, s[48:49]
	s_cbranch_vccz .LBB7_2
; %bb.16:                               ;   in Loop: Header=BB7_3 Depth=1
	v_lshlrev_b64 v[4:5], 1, v[2:3]
	v_mov_b32_e32 v3, s37
	v_add_co_u32_e32 v4, vcc, s36, v4
	v_addc_co_u32_e32 v5, vcc, v3, v5, vcc
	global_load_ushort v3, v[4:5], off
	s_waitcnt vmcnt(0)
	v_cvt_f32_f16_e32 v3, v3
	v_add_f32_e32 v20, v20, v3
	s_branch .LBB7_2
.LBB7_17:
	s_endpgm
	.section	.rodata,"a",@progbits
	.p2align	6, 0x0
	.amdhsa_kernel _ZN2at6native12_GLOBAL__N_128conv_depthwise3d_cuda_kernelIN3c104HalfEfLin1ELin1ELin1ELi1ELi1ELi1EEEvN5torch10headeronly6detail27GenericPackedTensorAccessorINS7_14TensorAccessorINS3_8ArrayRefIlEEKT_Lm4ENS6_16DefaultPtrTraitsEiEENS_6detail16IndexBoundsCheckILm5EiEESD_Lm5ESE_iEENS8_INS9_ISB_SC_Lm4ESE_iEESI_SC_Lm5ESE_iEESJ_PSD_iiiiiiiii
		.amdhsa_group_segment_fixed_size 0
		.amdhsa_private_segment_fixed_size 0
		.amdhsa_kernarg_size 448
		.amdhsa_user_sgpr_count 6
		.amdhsa_user_sgpr_private_segment_buffer 1
		.amdhsa_user_sgpr_dispatch_ptr 0
		.amdhsa_user_sgpr_queue_ptr 0
		.amdhsa_user_sgpr_kernarg_segment_ptr 1
		.amdhsa_user_sgpr_dispatch_id 0
		.amdhsa_user_sgpr_flat_scratch_init 0
		.amdhsa_user_sgpr_kernarg_preload_length 0
		.amdhsa_user_sgpr_kernarg_preload_offset 0
		.amdhsa_user_sgpr_private_segment_size 0
		.amdhsa_uses_dynamic_stack 0
		.amdhsa_system_sgpr_private_segment_wavefront_offset 0
		.amdhsa_system_sgpr_workgroup_id_x 1
		.amdhsa_system_sgpr_workgroup_id_y 0
		.amdhsa_system_sgpr_workgroup_id_z 0
		.amdhsa_system_sgpr_workgroup_info 0
		.amdhsa_system_vgpr_workitem_id 0
		.amdhsa_next_free_vgpr 24
		.amdhsa_next_free_sgpr 78
		.amdhsa_accum_offset 24
		.amdhsa_reserve_vcc 1
		.amdhsa_reserve_flat_scratch 0
		.amdhsa_float_round_mode_32 0
		.amdhsa_float_round_mode_16_64 0
		.amdhsa_float_denorm_mode_32 3
		.amdhsa_float_denorm_mode_16_64 3
		.amdhsa_dx10_clamp 1
		.amdhsa_ieee_mode 1
		.amdhsa_fp16_overflow 0
		.amdhsa_tg_split 0
		.amdhsa_exception_fp_ieee_invalid_op 0
		.amdhsa_exception_fp_denorm_src 0
		.amdhsa_exception_fp_ieee_div_zero 0
		.amdhsa_exception_fp_ieee_overflow 0
		.amdhsa_exception_fp_ieee_underflow 0
		.amdhsa_exception_fp_ieee_inexact 0
		.amdhsa_exception_int_div_zero 0
	.end_amdhsa_kernel
	.section	.text._ZN2at6native12_GLOBAL__N_128conv_depthwise3d_cuda_kernelIN3c104HalfEfLin1ELin1ELin1ELi1ELi1ELi1EEEvN5torch10headeronly6detail27GenericPackedTensorAccessorINS7_14TensorAccessorINS3_8ArrayRefIlEEKT_Lm4ENS6_16DefaultPtrTraitsEiEENS_6detail16IndexBoundsCheckILm5EiEESD_Lm5ESE_iEENS8_INS9_ISB_SC_Lm4ESE_iEESI_SC_Lm5ESE_iEESJ_PSD_iiiiiiiii,"axG",@progbits,_ZN2at6native12_GLOBAL__N_128conv_depthwise3d_cuda_kernelIN3c104HalfEfLin1ELin1ELin1ELi1ELi1ELi1EEEvN5torch10headeronly6detail27GenericPackedTensorAccessorINS7_14TensorAccessorINS3_8ArrayRefIlEEKT_Lm4ENS6_16DefaultPtrTraitsEiEENS_6detail16IndexBoundsCheckILm5EiEESD_Lm5ESE_iEENS8_INS9_ISB_SC_Lm4ESE_iEESI_SC_Lm5ESE_iEESJ_PSD_iiiiiiiii,comdat
.Lfunc_end7:
	.size	_ZN2at6native12_GLOBAL__N_128conv_depthwise3d_cuda_kernelIN3c104HalfEfLin1ELin1ELin1ELi1ELi1ELi1EEEvN5torch10headeronly6detail27GenericPackedTensorAccessorINS7_14TensorAccessorINS3_8ArrayRefIlEEKT_Lm4ENS6_16DefaultPtrTraitsEiEENS_6detail16IndexBoundsCheckILm5EiEESD_Lm5ESE_iEENS8_INS9_ISB_SC_Lm4ESE_iEESI_SC_Lm5ESE_iEESJ_PSD_iiiiiiiii, .Lfunc_end7-_ZN2at6native12_GLOBAL__N_128conv_depthwise3d_cuda_kernelIN3c104HalfEfLin1ELin1ELin1ELi1ELi1ELi1EEEvN5torch10headeronly6detail27GenericPackedTensorAccessorINS7_14TensorAccessorINS3_8ArrayRefIlEEKT_Lm4ENS6_16DefaultPtrTraitsEiEENS_6detail16IndexBoundsCheckILm5EiEESD_Lm5ESE_iEENS8_INS9_ISB_SC_Lm4ESE_iEESI_SC_Lm5ESE_iEESJ_PSD_iiiiiiiii
                                        ; -- End function
	.section	.AMDGPU.csdata,"",@progbits
; Kernel info:
; codeLenInByte = 1788
; NumSgprs: 82
; NumVgprs: 24
; NumAgprs: 0
; TotalNumVgprs: 24
; ScratchSize: 0
; MemoryBound: 0
; FloatMode: 240
; IeeeMode: 1
; LDSByteSize: 0 bytes/workgroup (compile time only)
; SGPRBlocks: 10
; VGPRBlocks: 2
; NumSGPRsForWavesPerEU: 82
; NumVGPRsForWavesPerEU: 24
; AccumOffset: 24
; Occupancy: 8
; WaveLimiterHint : 0
; COMPUTE_PGM_RSRC2:SCRATCH_EN: 0
; COMPUTE_PGM_RSRC2:USER_SGPR: 6
; COMPUTE_PGM_RSRC2:TRAP_HANDLER: 0
; COMPUTE_PGM_RSRC2:TGID_X_EN: 1
; COMPUTE_PGM_RSRC2:TGID_Y_EN: 0
; COMPUTE_PGM_RSRC2:TGID_Z_EN: 0
; COMPUTE_PGM_RSRC2:TIDIG_COMP_CNT: 0
; COMPUTE_PGM_RSRC3_GFX90A:ACCUM_OFFSET: 5
; COMPUTE_PGM_RSRC3_GFX90A:TG_SPLIT: 0
	.section	.text._ZN2at6native12_GLOBAL__N_128conv_depthwise3d_cuda_kernelIN3c104HalfEfLin1ELin1ELin1ELin1ELin1ELin1EEEvN5torch10headeronly6detail27GenericPackedTensorAccessorINS7_14TensorAccessorINS3_8ArrayRefIlEEKT_Lm4ENS6_16DefaultPtrTraitsEiEENS_6detail16IndexBoundsCheckILm5EiEESD_Lm5ESE_iEENS8_INS9_ISB_SC_Lm4ESE_iEESI_SC_Lm5ESE_iEESJ_PSD_iiiiiiiii,"axG",@progbits,_ZN2at6native12_GLOBAL__N_128conv_depthwise3d_cuda_kernelIN3c104HalfEfLin1ELin1ELin1ELin1ELin1ELin1EEEvN5torch10headeronly6detail27GenericPackedTensorAccessorINS7_14TensorAccessorINS3_8ArrayRefIlEEKT_Lm4ENS6_16DefaultPtrTraitsEiEENS_6detail16IndexBoundsCheckILm5EiEESD_Lm5ESE_iEENS8_INS9_ISB_SC_Lm4ESE_iEESI_SC_Lm5ESE_iEESJ_PSD_iiiiiiiii,comdat
	.globl	_ZN2at6native12_GLOBAL__N_128conv_depthwise3d_cuda_kernelIN3c104HalfEfLin1ELin1ELin1ELin1ELin1ELin1EEEvN5torch10headeronly6detail27GenericPackedTensorAccessorINS7_14TensorAccessorINS3_8ArrayRefIlEEKT_Lm4ENS6_16DefaultPtrTraitsEiEENS_6detail16IndexBoundsCheckILm5EiEESD_Lm5ESE_iEENS8_INS9_ISB_SC_Lm4ESE_iEESI_SC_Lm5ESE_iEESJ_PSD_iiiiiiiii ; -- Begin function _ZN2at6native12_GLOBAL__N_128conv_depthwise3d_cuda_kernelIN3c104HalfEfLin1ELin1ELin1ELin1ELin1ELin1EEEvN5torch10headeronly6detail27GenericPackedTensorAccessorINS7_14TensorAccessorINS3_8ArrayRefIlEEKT_Lm4ENS6_16DefaultPtrTraitsEiEENS_6detail16IndexBoundsCheckILm5EiEESD_Lm5ESE_iEENS8_INS9_ISB_SC_Lm4ESE_iEESI_SC_Lm5ESE_iEESJ_PSD_iiiiiiiii
	.p2align	8
	.type	_ZN2at6native12_GLOBAL__N_128conv_depthwise3d_cuda_kernelIN3c104HalfEfLin1ELin1ELin1ELin1ELin1ELin1EEEvN5torch10headeronly6detail27GenericPackedTensorAccessorINS7_14TensorAccessorINS3_8ArrayRefIlEEKT_Lm4ENS6_16DefaultPtrTraitsEiEENS_6detail16IndexBoundsCheckILm5EiEESD_Lm5ESE_iEENS8_INS9_ISB_SC_Lm4ESE_iEESI_SC_Lm5ESE_iEESJ_PSD_iiiiiiiii,@function
_ZN2at6native12_GLOBAL__N_128conv_depthwise3d_cuda_kernelIN3c104HalfEfLin1ELin1ELin1ELin1ELin1ELin1EEEvN5torch10headeronly6detail27GenericPackedTensorAccessorINS7_14TensorAccessorINS3_8ArrayRefIlEEKT_Lm4ENS6_16DefaultPtrTraitsEiEENS_6detail16IndexBoundsCheckILm5EiEESD_Lm5ESE_iEENS8_INS9_ISB_SC_Lm4ESE_iEESI_SC_Lm5ESE_iEESJ_PSD_iiiiiiiii: ; @_ZN2at6native12_GLOBAL__N_128conv_depthwise3d_cuda_kernelIN3c104HalfEfLin1ELin1ELin1ELin1ELin1ELin1EEEvN5torch10headeronly6detail27GenericPackedTensorAccessorINS7_14TensorAccessorINS3_8ArrayRefIlEEKT_Lm4ENS6_16DefaultPtrTraitsEiEENS_6detail16IndexBoundsCheckILm5EiEESD_Lm5ESE_iEENS8_INS9_ISB_SC_Lm4ESE_iEESI_SC_Lm5ESE_iEESJ_PSD_iiiiiiiii
; %bb.0:
	s_load_dwordx4 s[16:19], s[4:5], 0xc
	s_load_dwordx4 s[20:23], s[4:5], 0x38
	s_load_dwordx2 s[34:35], s[4:5], 0x48
	s_load_dword s2, s[4:5], 0xcc
	v_mov_b32_e32 v1, 0
	s_waitcnt lgkmcnt(0)
	s_abs_i32 s3, s16
	v_cvt_f32_u32_e32 v2, s3
	s_add_u32 s0, s4, 0xc0
	v_mov_b32_e32 v3, s6
	s_mul_i32 s6, s35, s20
	v_rcp_iflag_f32_e32 v2, v2
	s_addc_u32 s1, s5, 0
	s_and_b32 s2, s2, 0xffff
	v_mad_u64_u32 v[0:1], s[8:9], s2, v3, v[0:1]
	v_mul_f32_e32 v2, 0x4f7ffffe, v2
	v_cvt_u32_f32_e32 v2, v2
	s_ashr_i32 s7, s6, 31
	v_cmp_gt_i64_e32 vcc, s[6:7], v[0:1]
	v_readfirstlane_b32 s8, v2
	s_and_saveexec_b64 s[10:11], vcc
	s_cbranch_execz .LBB8_17
; %bb.1:
	s_sub_i32 s9, 0, s3
	s_mul_i32 s9, s9, s8
	s_mul_hi_u32 s9, s8, s9
	s_ashr_i32 s24, s16, 31
	s_abs_i32 s16, s21
	s_add_i32 s8, s8, s9
	s_mul_hi_u32 s25, s16, s8
	s_mul_i32 s26, s25, s3
	s_ashr_i32 s20, s21, 31
	s_sub_i32 s26, s16, s26
	s_xor_b32 s24, s20, s24
	s_add_i32 s27, s25, 1
	s_sub_i32 s28, s26, s3
	s_cmp_ge_u32 s26, s3
	s_cselect_b32 s25, s27, s25
	s_cselect_b32 s26, s28, s26
	s_add_i32 s27, s25, 1
	s_cmp_ge_u32 s26, s3
	s_cselect_b32 s3, s27, s25
	s_xor_b32 s3, s3, s24
	s_load_dwordx2 s[40:41], s[4:5], 0x90
	s_load_dwordx8 s[8:15], s[4:5], 0x98
	s_load_dword s42, s[4:5], 0xb8
	s_sub_i32 s3, s3, s24
	s_load_dwordx4 s[24:27], s[4:5], 0x70
	s_load_dword s60, s[0:1], 0x0
                                        ; kill: killed $sgpr0 killed $sgpr1
	s_waitcnt lgkmcnt(0)
	s_load_dword s27, s[4:5], 0x7c
	s_load_dwordx2 s[44:45], s[4:5], 0x0
	s_load_dwordx4 s[28:31], s[4:5], 0x1c
	s_mul_i32 s36, s18, s14
	s_mul_i32 s0, s19, s15
	s_cmp_gt_i32 s24, 0
	s_cselect_b64 s[46:47], -1, 0
	s_cmp_gt_i32 s25, 0
	s_cselect_b64 s[48:49], -1, 0
	s_cmp_gt_i32 s26, 0
	s_mul_i32 s37, s25, s15
	s_cselect_b64 s[50:51], -1, 0
	s_mul_i32 s1, s26, s42
	s_sub_i32 s36, s36, s37
	s_sub_i32 s0, s0, s1
	s_mul_i32 s64, s36, s19
	s_ashr_i32 s43, s42, 31
	s_ashr_i32 s1, s0, 31
	;; [unrolled: 1-line block ×3, first 2 shown]
	s_cmp_lg_u64 s[40:41], 0
	s_cselect_b64 s[52:53], -1, 0
	s_abs_i32 s68, s34
	v_cvt_f32_u32_e32 v2, s68
	s_abs_i32 s71, s23
	v_cvt_f32_u32_e32 v3, s71
	s_mul_i32 s70, s60, s2
	v_rcp_iflag_f32_e32 v2, v2
	s_sub_i32 s2, 0, s68
	v_rcp_iflag_f32_e32 v3, v3
	s_abs_i32 s73, s22
	v_mul_f32_e32 v2, 0x4f7ffffe, v2
	v_cvt_u32_f32_e32 v2, v2
	s_abs_i32 s76, s3
	v_cvt_f32_u32_e32 v5, s76
	s_load_dword s69, s[4:5], 0x2c
	s_load_dwordx2 s[54:55], s[4:5], 0x30
	v_mul_lo_u32 v4, s2, v2
	v_mul_hi_u32 v4, v2, v4
	v_add_u32_e32 v8, v2, v4
	v_mul_f32_e32 v2, 0x4f7ffffe, v3
	v_cvt_f32_u32_e32 v3, s73
	v_cvt_u32_f32_e32 v2, v2
	s_sub_i32 s2, 0, s71
	s_load_dwordx2 s[58:59], s[4:5], 0x60
	s_load_dwordx4 s[36:39], s[4:5], 0x50
	v_rcp_iflag_f32_e32 v3, v3
	v_mul_lo_u32 v4, s2, v2
	v_mul_hi_u32 v4, v2, v4
	v_add_u32_e32 v9, v2, v4
	v_mul_f32_e32 v2, 0x4f7ffffe, v3
	v_cvt_u32_f32_e32 v2, v2
	v_cvt_f32_u32_e32 v3, s16
	s_sub_i32 s2, 0, s73
	s_mov_b32 s33, 0
	v_mul_lo_u32 v4, s2, v2
	v_rcp_iflag_f32_e32 v3, v3
	v_mul_hi_u32 v4, v2, v4
	v_add_u32_e32 v10, v2, v4
	v_rcp_iflag_f32_e32 v2, v5
	v_mul_f32_e32 v3, 0x4f7ffffe, v3
	v_cvt_u32_f32_e32 v3, v3
	s_sub_i32 s2, 0, s16
	v_mul_f32_e32 v2, 0x4f7ffffe, v2
	v_cvt_u32_f32_e32 v2, v2
	v_mul_lo_u32 v4, s2, v3
	v_mul_hi_u32 v4, v3, v4
	s_sub_i32 s2, 0, s76
	v_add_u32_e32 v11, v3, v4
	v_mul_lo_u32 v3, s2, v2
	v_mul_hi_u32 v3, v2, v3
	s_mov_b64 s[56:57], 0
	s_ashr_i32 s72, s34, 31
	s_ashr_i32 s74, s23, 31
	;; [unrolled: 1-line block ×4, first 2 shown]
	v_add_u32_e32 v12, v2, v3
	s_lshl_b64 s[60:61], s[42:43], 1
	s_lshl_b64 s[62:63], s[0:1], 1
	;; [unrolled: 1-line block ×3, first 2 shown]
	s_branch .LBB8_3
.LBB8_2:                                ;   in Loop: Header=BB8_3 Depth=1
	v_mul_lo_u32 v4, v16, s35
	v_ashrrev_i32_e32 v5, 31, v4
	v_lshlrev_b64 v[4:5], 1, v[4:5]
	s_waitcnt lgkmcnt(0)
	v_mov_b32_e32 v3, s55
	v_add_co_u32_e32 v4, vcc, s54, v4
	v_mul_lo_u32 v2, s36, v2
	v_addc_co_u32_e32 v5, vcc, v3, v5, vcc
	v_ashrrev_i32_e32 v3, 31, v2
	v_lshlrev_b64 v[2:3], 1, v[2:3]
	v_add_co_u32_e32 v4, vcc, v4, v2
	v_mul_lo_u32 v2, s37, v15
	v_addc_co_u32_e32 v5, vcc, v5, v3, vcc
	v_ashrrev_i32_e32 v3, 31, v2
	v_lshlrev_b64 v[2:3], 1, v[2:3]
	;; [unrolled: 5-line block ×4, first 2 shown]
	v_add_co_u32_e32 v2, vcc, v4, v2
	v_addc_co_u32_e32 v3, vcc, v5, v3, vcc
	v_cvt_f16_f32_e32 v6, v20
	v_mov_b32_e32 v4, s33
	v_add_co_u32_e32 v0, vcc, s70, v0
	v_addc_co_u32_e32 v1, vcc, v1, v4, vcc
	v_cmp_le_i64_e32 vcc, s[6:7], v[0:1]
	s_or_b64 s[56:57], vcc, s[56:57]
	global_store_short v[2:3], v6, off
	s_andn2_b64 exec, exec, s[56:57]
	s_cbranch_execz .LBB8_17
.LBB8_3:                                ; =>This Loop Header: Depth=1
                                        ;     Child Loop BB8_6 Depth 2
                                        ;       Child Loop BB8_9 Depth 3
                                        ;         Child Loop BB8_12 Depth 4
	v_sub_u32_e32 v3, 0, v0
	v_max_i32_e32 v3, v0, v3
	v_mul_hi_u32 v4, v3, v8
	v_mul_lo_u32 v5, v4, s68
	v_sub_u32_e32 v3, v3, v5
	v_add_u32_e32 v5, 1, v4
	v_cmp_le_u32_e32 vcc, s68, v3
	v_cndmask_b32_e32 v4, v4, v5, vcc
	v_subrev_u32_e32 v5, s68, v3
	v_cndmask_b32_e32 v3, v3, v5, vcc
	v_ashrrev_i32_e32 v2, 31, v0
	v_add_u32_e32 v5, 1, v4
	v_cmp_le_u32_e32 vcc, s68, v3
	v_xor_b32_e32 v2, s72, v2
	v_cndmask_b32_e32 v3, v4, v5, vcc
	v_xor_b32_e32 v3, v3, v2
	v_sub_u32_e32 v2, v3, v2
	v_sub_u32_e32 v4, 0, v2
	v_max_i32_e32 v4, v2, v4
	v_mul_hi_u32 v5, v4, v9
	v_mul_lo_u32 v6, v5, s71
	v_sub_u32_e32 v4, v4, v6
	v_add_u32_e32 v6, 1, v5
	v_cmp_le_u32_e32 vcc, s71, v4
	v_cndmask_b32_e32 v5, v5, v6, vcc
	v_subrev_u32_e32 v6, s71, v4
	v_mul_lo_u32 v3, v2, s34
	v_cndmask_b32_e32 v4, v4, v6, vcc
	v_sub_u32_e32 v13, v0, v3
	v_ashrrev_i32_e32 v3, 31, v2
	v_add_u32_e32 v6, 1, v5
	v_cmp_le_u32_e32 vcc, s71, v4
	v_xor_b32_e32 v3, s74, v3
	v_cndmask_b32_e32 v4, v5, v6, vcc
	v_xor_b32_e32 v4, v4, v3
	v_sub_u32_e32 v3, v4, v3
	v_mul_lo_u32 v4, v3, s23
	v_sub_u32_e32 v14, v2, v4
	v_sub_u32_e32 v4, 0, v3
	v_max_i32_e32 v4, v3, v4
	v_mul_hi_u32 v5, v4, v10
	v_mul_lo_u32 v6, v5, s73
	v_sub_u32_e32 v4, v4, v6
	v_add_u32_e32 v6, 1, v5
	v_cmp_le_u32_e32 vcc, s73, v4
	v_cndmask_b32_e32 v5, v5, v6, vcc
	v_subrev_u32_e32 v6, s73, v4
	v_cndmask_b32_e32 v4, v4, v6, vcc
	v_ashrrev_i32_e32 v2, 31, v3
	v_add_u32_e32 v6, 1, v5
	v_cmp_le_u32_e32 vcc, s73, v4
	v_xor_b32_e32 v2, s75, v2
	v_cndmask_b32_e32 v4, v5, v6, vcc
	v_xor_b32_e32 v4, v4, v2
	v_sub_u32_e32 v2, v4, v2
	v_mul_lo_u32 v4, v2, s22
	v_sub_u32_e32 v15, v3, v4
	v_sub_u32_e32 v4, 0, v2
	v_max_i32_e32 v4, v2, v4
	v_mul_hi_u32 v5, v4, v11
	v_mul_lo_u32 v6, v5, s16
	v_sub_u32_e32 v4, v4, v6
	v_add_u32_e32 v6, 1, v5
	v_cmp_le_u32_e32 vcc, s16, v4
	v_cndmask_b32_e32 v5, v5, v6, vcc
	v_subrev_u32_e32 v6, s16, v4
	v_cndmask_b32_e32 v4, v4, v6, vcc
	v_ashrrev_i32_e32 v3, 31, v2
	v_add_u32_e32 v6, 1, v5
	v_cmp_le_u32_e32 vcc, s16, v4
	v_xor_b32_e32 v3, s20, v3
	v_cndmask_b32_e32 v4, v5, v6, vcc
	v_xor_b32_e32 v4, v4, v3
	v_sub_u32_e32 v16, v4, v3
	v_mul_lo_u32 v3, v16, s21
	v_sub_u32_e32 v2, v2, v3
	s_andn2_b64 vcc, exec, s[46:47]
	v_ashrrev_i32_e32 v3, 31, v2
	s_cbranch_vccnz .LBB8_14
; %bb.4:                                ;   in Loop: Header=BB8_3 Depth=1
	v_mul_lo_u32 v4, v13, s10
	v_subrev_u32_e32 v17, s13, v4
	v_mul_lo_u32 v4, v14, s9
	v_subrev_u32_e32 v18, s12, v4
	;; [unrolled: 2-line block ×3, first 2 shown]
	s_waitcnt lgkmcnt(0)
	v_mul_lo_u32 v4, s28, v16
	v_ashrrev_i32_e32 v5, 31, v4
	v_lshlrev_b64 v[4:5], 1, v[4:5]
	v_mov_b32_e32 v6, s45
	v_add_co_u32_e32 v7, vcc, s44, v4
	v_addc_co_u32_e32 v6, vcc, v6, v5, vcc
	v_sub_u32_e32 v5, 0, v2
	v_max_i32_e32 v5, v2, v5
	v_mul_hi_u32 v20, v5, v12
	v_mul_lo_u32 v21, v20, s76
	v_sub_u32_e32 v5, v5, v21
	v_add_u32_e32 v21, 1, v20
	v_cmp_le_u32_e32 vcc, s76, v5
	v_cndmask_b32_e32 v20, v20, v21, vcc
	v_subrev_u32_e32 v21, s76, v5
	v_cndmask_b32_e32 v5, v5, v21, vcc
	v_add_u32_e32 v21, 1, v20
	v_cmp_le_u32_e32 vcc, s76, v5
	v_xor_b32_e32 v4, s77, v3
	v_cndmask_b32_e32 v5, v20, v21, vcc
	v_xor_b32_e32 v5, v5, v4
	v_sub_u32_e32 v4, v5, v4
	v_mul_lo_u32 v4, s29, v4
	v_ashrrev_i32_e32 v5, 31, v4
	v_lshlrev_b64 v[4:5], 1, v[4:5]
	v_add_co_u32_e32 v7, vcc, v7, v4
	v_mul_lo_u32 v4, s30, v19
	v_addc_co_u32_e32 v6, vcc, v6, v5, vcc
	v_ashrrev_i32_e32 v5, 31, v4
	v_lshlrev_b64 v[4:5], 1, v[4:5]
	v_add_co_u32_e32 v7, vcc, v7, v4
	v_mul_lo_u32 v4, s31, v18
	v_addc_co_u32_e32 v6, vcc, v6, v5, vcc
	;; [unrolled: 5-line block ×3, first 2 shown]
	v_ashrrev_i32_e32 v5, 31, v4
	v_lshlrev_b64 v[4:5], 1, v[4:5]
	v_add_co_u32_e32 v4, vcc, v7, v4
	v_addc_co_u32_e32 v5, vcc, v6, v5, vcc
	v_mul_lo_u32 v6, s27, v2
	v_ashrrev_i32_e32 v7, 31, v6
	v_lshlrev_b64 v[6:7], 1, v[6:7]
	v_mov_b32_e32 v20, s59
	v_add_co_u32_e32 v6, vcc, s58, v6
	s_mov_b32 s43, 0
	v_addc_co_u32_e32 v7, vcc, v20, v7, vcc
	v_mov_b32_e32 v20, 0
	s_branch .LBB8_6
.LBB8_5:                                ;   in Loop: Header=BB8_6 Depth=2
	v_mov_b32_e32 v21, s65
	s_add_i32 s43, s43, 1
	v_add_co_u32_e32 v4, vcc, s64, v4
	s_cmp_eq_u32 s43, s24
	v_addc_co_u32_e32 v5, vcc, v5, v21, vcc
	s_cbranch_scc1 .LBB8_15
.LBB8_6:                                ;   Parent Loop BB8_3 Depth=1
                                        ; =>  This Loop Header: Depth=2
                                        ;       Child Loop BB8_9 Depth 3
                                        ;         Child Loop BB8_12 Depth 4
	s_andn2_b64 vcc, exec, s[48:49]
	s_cbranch_vccnz .LBB8_5
; %bb.7:                                ;   in Loop: Header=BB8_6 Depth=2
	s_mul_i32 s0, s43, s14
	v_add_u32_e32 v21, s0, v19
	v_cmp_lt_i32_e64 s[0:1], -1, v21
	v_cmp_gt_i32_e64 s[2:3], s17, v21
	s_mov_b32 s78, 0
	s_branch .LBB8_9
.LBB8_8:                                ;   in Loop: Header=BB8_9 Depth=3
	v_mov_b32_e32 v21, s63
	s_add_i32 s78, s78, 1
	v_add_co_u32_e32 v4, vcc, s62, v4
	s_cmp_eq_u32 s78, s25
	v_addc_co_u32_e32 v5, vcc, v5, v21, vcc
	s_cbranch_scc1 .LBB8_5
.LBB8_9:                                ;   Parent Loop BB8_3 Depth=1
                                        ;     Parent Loop BB8_6 Depth=2
                                        ; =>    This Loop Header: Depth=3
                                        ;         Child Loop BB8_12 Depth 4
	s_andn2_b64 vcc, exec, s[50:51]
	s_cbranch_vccnz .LBB8_8
; %bb.10:                               ;   in Loop: Header=BB8_9 Depth=3
	s_mul_i32 s4, s78, s15
	v_add_u32_e32 v21, s4, v18
	v_cmp_lt_i32_e32 vcc, -1, v21
	s_and_b64 s[66:67], s[0:1], vcc
	v_cmp_gt_i32_e32 vcc, s18, v21
	v_mov_b32_e32 v21, v17
	s_mov_b32 s79, s26
	s_branch .LBB8_12
.LBB8_11:                               ;   in Loop: Header=BB8_12 Depth=4
	s_or_b64 exec, exec, s[4:5]
	v_add_co_u32_e64 v6, s[4:5], 2, v6
	v_addc_co_u32_e64 v7, s[4:5], 0, v7, s[4:5]
	s_add_i32 s79, s79, -1
	v_mov_b32_e32 v22, s61
	v_add_co_u32_e64 v4, s[4:5], s60, v4
	v_add_u32_e32 v21, s42, v21
	s_cmp_eq_u32 s79, 0
	v_addc_co_u32_e64 v5, s[4:5], v5, v22, s[4:5]
	s_cbranch_scc1 .LBB8_8
.LBB8_12:                               ;   Parent Loop BB8_3 Depth=1
                                        ;     Parent Loop BB8_6 Depth=2
                                        ;       Parent Loop BB8_9 Depth=3
                                        ; =>      This Inner Loop Header: Depth=4
	v_cmp_lt_i32_e64 s[4:5], -1, v21
	s_and_b64 s[4:5], s[66:67], s[4:5]
	s_and_b64 s[4:5], s[4:5], s[2:3]
	s_and_b64 s[80:81], s[4:5], vcc
	v_cmp_gt_i32_e64 s[4:5], s19, v21
	s_and_b64 s[80:81], s[80:81], s[4:5]
	s_and_saveexec_b64 s[4:5], s[80:81]
	s_cbranch_execz .LBB8_11
; %bb.13:                               ;   in Loop: Header=BB8_12 Depth=4
	global_load_ushort v22, v[6:7], off
	global_load_ushort v23, v[4:5], off
	s_waitcnt vmcnt(0)
	v_fma_mix_f32 v20, v22, v23, v20 op_sel_hi:[1,1,0]
	s_branch .LBB8_11
.LBB8_14:                               ;   in Loop: Header=BB8_3 Depth=1
	v_mov_b32_e32 v20, 0
.LBB8_15:                               ;   in Loop: Header=BB8_3 Depth=1
	s_and_b64 vcc, exec, s[52:53]
	s_cbranch_vccz .LBB8_2
; %bb.16:                               ;   in Loop: Header=BB8_3 Depth=1
	v_lshlrev_b64 v[4:5], 1, v[2:3]
	v_mov_b32_e32 v3, s41
	v_add_co_u32_e32 v4, vcc, s40, v4
	v_addc_co_u32_e32 v5, vcc, v3, v5, vcc
	global_load_ushort v3, v[4:5], off
	s_waitcnt vmcnt(0)
	v_cvt_f32_f16_e32 v3, v3
	v_add_f32_e32 v20, v20, v3
	s_branch .LBB8_2
.LBB8_17:
	s_endpgm
	.section	.rodata,"a",@progbits
	.p2align	6, 0x0
	.amdhsa_kernel _ZN2at6native12_GLOBAL__N_128conv_depthwise3d_cuda_kernelIN3c104HalfEfLin1ELin1ELin1ELin1ELin1ELin1EEEvN5torch10headeronly6detail27GenericPackedTensorAccessorINS7_14TensorAccessorINS3_8ArrayRefIlEEKT_Lm4ENS6_16DefaultPtrTraitsEiEENS_6detail16IndexBoundsCheckILm5EiEESD_Lm5ESE_iEENS8_INS9_ISB_SC_Lm4ESE_iEESI_SC_Lm5ESE_iEESJ_PSD_iiiiiiiii
		.amdhsa_group_segment_fixed_size 0
		.amdhsa_private_segment_fixed_size 0
		.amdhsa_kernarg_size 448
		.amdhsa_user_sgpr_count 6
		.amdhsa_user_sgpr_private_segment_buffer 1
		.amdhsa_user_sgpr_dispatch_ptr 0
		.amdhsa_user_sgpr_queue_ptr 0
		.amdhsa_user_sgpr_kernarg_segment_ptr 1
		.amdhsa_user_sgpr_dispatch_id 0
		.amdhsa_user_sgpr_flat_scratch_init 0
		.amdhsa_user_sgpr_kernarg_preload_length 0
		.amdhsa_user_sgpr_kernarg_preload_offset 0
		.amdhsa_user_sgpr_private_segment_size 0
		.amdhsa_uses_dynamic_stack 0
		.amdhsa_system_sgpr_private_segment_wavefront_offset 0
		.amdhsa_system_sgpr_workgroup_id_x 1
		.amdhsa_system_sgpr_workgroup_id_y 0
		.amdhsa_system_sgpr_workgroup_id_z 0
		.amdhsa_system_sgpr_workgroup_info 0
		.amdhsa_system_vgpr_workitem_id 0
		.amdhsa_next_free_vgpr 24
		.amdhsa_next_free_sgpr 82
		.amdhsa_accum_offset 24
		.amdhsa_reserve_vcc 1
		.amdhsa_reserve_flat_scratch 0
		.amdhsa_float_round_mode_32 0
		.amdhsa_float_round_mode_16_64 0
		.amdhsa_float_denorm_mode_32 3
		.amdhsa_float_denorm_mode_16_64 3
		.amdhsa_dx10_clamp 1
		.amdhsa_ieee_mode 1
		.amdhsa_fp16_overflow 0
		.amdhsa_tg_split 0
		.amdhsa_exception_fp_ieee_invalid_op 0
		.amdhsa_exception_fp_denorm_src 0
		.amdhsa_exception_fp_ieee_div_zero 0
		.amdhsa_exception_fp_ieee_overflow 0
		.amdhsa_exception_fp_ieee_underflow 0
		.amdhsa_exception_fp_ieee_inexact 0
		.amdhsa_exception_int_div_zero 0
	.end_amdhsa_kernel
	.section	.text._ZN2at6native12_GLOBAL__N_128conv_depthwise3d_cuda_kernelIN3c104HalfEfLin1ELin1ELin1ELin1ELin1ELin1EEEvN5torch10headeronly6detail27GenericPackedTensorAccessorINS7_14TensorAccessorINS3_8ArrayRefIlEEKT_Lm4ENS6_16DefaultPtrTraitsEiEENS_6detail16IndexBoundsCheckILm5EiEESD_Lm5ESE_iEENS8_INS9_ISB_SC_Lm4ESE_iEESI_SC_Lm5ESE_iEESJ_PSD_iiiiiiiii,"axG",@progbits,_ZN2at6native12_GLOBAL__N_128conv_depthwise3d_cuda_kernelIN3c104HalfEfLin1ELin1ELin1ELin1ELin1ELin1EEEvN5torch10headeronly6detail27GenericPackedTensorAccessorINS7_14TensorAccessorINS3_8ArrayRefIlEEKT_Lm4ENS6_16DefaultPtrTraitsEiEENS_6detail16IndexBoundsCheckILm5EiEESD_Lm5ESE_iEENS8_INS9_ISB_SC_Lm4ESE_iEESI_SC_Lm5ESE_iEESJ_PSD_iiiiiiiii,comdat
.Lfunc_end8:
	.size	_ZN2at6native12_GLOBAL__N_128conv_depthwise3d_cuda_kernelIN3c104HalfEfLin1ELin1ELin1ELin1ELin1ELin1EEEvN5torch10headeronly6detail27GenericPackedTensorAccessorINS7_14TensorAccessorINS3_8ArrayRefIlEEKT_Lm4ENS6_16DefaultPtrTraitsEiEENS_6detail16IndexBoundsCheckILm5EiEESD_Lm5ESE_iEENS8_INS9_ISB_SC_Lm4ESE_iEESI_SC_Lm5ESE_iEESJ_PSD_iiiiiiiii, .Lfunc_end8-_ZN2at6native12_GLOBAL__N_128conv_depthwise3d_cuda_kernelIN3c104HalfEfLin1ELin1ELin1ELin1ELin1ELin1EEEvN5torch10headeronly6detail27GenericPackedTensorAccessorINS7_14TensorAccessorINS3_8ArrayRefIlEEKT_Lm4ENS6_16DefaultPtrTraitsEiEENS_6detail16IndexBoundsCheckILm5EiEESD_Lm5ESE_iEENS8_INS9_ISB_SC_Lm4ESE_iEESI_SC_Lm5ESE_iEESJ_PSD_iiiiiiiii
                                        ; -- End function
	.section	.AMDGPU.csdata,"",@progbits
; Kernel info:
; codeLenInByte = 1824
; NumSgprs: 86
; NumVgprs: 24
; NumAgprs: 0
; TotalNumVgprs: 24
; ScratchSize: 0
; MemoryBound: 0
; FloatMode: 240
; IeeeMode: 1
; LDSByteSize: 0 bytes/workgroup (compile time only)
; SGPRBlocks: 10
; VGPRBlocks: 2
; NumSGPRsForWavesPerEU: 86
; NumVGPRsForWavesPerEU: 24
; AccumOffset: 24
; Occupancy: 8
; WaveLimiterHint : 0
; COMPUTE_PGM_RSRC2:SCRATCH_EN: 0
; COMPUTE_PGM_RSRC2:USER_SGPR: 6
; COMPUTE_PGM_RSRC2:TRAP_HANDLER: 0
; COMPUTE_PGM_RSRC2:TGID_X_EN: 1
; COMPUTE_PGM_RSRC2:TGID_Y_EN: 0
; COMPUTE_PGM_RSRC2:TGID_Z_EN: 0
; COMPUTE_PGM_RSRC2:TIDIG_COMP_CNT: 0
; COMPUTE_PGM_RSRC3_GFX90A:ACCUM_OFFSET: 5
; COMPUTE_PGM_RSRC3_GFX90A:TG_SPLIT: 0
	.section	.text._ZN2at6native12_GLOBAL__N_128conv_depthwise3d_cuda_kernelIN3c108BFloat16EfLi3ELi3ELi3ELi1ELi1ELi1EEEvN5torch10headeronly6detail27GenericPackedTensorAccessorINS7_14TensorAccessorINS3_8ArrayRefIlEEKT_Lm4ENS6_16DefaultPtrTraitsEiEENS_6detail16IndexBoundsCheckILm5EiEESD_Lm5ESE_iEENS8_INS9_ISB_SC_Lm4ESE_iEESI_SC_Lm5ESE_iEESJ_PSD_iiiiiiiii,"axG",@progbits,_ZN2at6native12_GLOBAL__N_128conv_depthwise3d_cuda_kernelIN3c108BFloat16EfLi3ELi3ELi3ELi1ELi1ELi1EEEvN5torch10headeronly6detail27GenericPackedTensorAccessorINS7_14TensorAccessorINS3_8ArrayRefIlEEKT_Lm4ENS6_16DefaultPtrTraitsEiEENS_6detail16IndexBoundsCheckILm5EiEESD_Lm5ESE_iEENS8_INS9_ISB_SC_Lm4ESE_iEESI_SC_Lm5ESE_iEESJ_PSD_iiiiiiiii,comdat
	.globl	_ZN2at6native12_GLOBAL__N_128conv_depthwise3d_cuda_kernelIN3c108BFloat16EfLi3ELi3ELi3ELi1ELi1ELi1EEEvN5torch10headeronly6detail27GenericPackedTensorAccessorINS7_14TensorAccessorINS3_8ArrayRefIlEEKT_Lm4ENS6_16DefaultPtrTraitsEiEENS_6detail16IndexBoundsCheckILm5EiEESD_Lm5ESE_iEENS8_INS9_ISB_SC_Lm4ESE_iEESI_SC_Lm5ESE_iEESJ_PSD_iiiiiiiii ; -- Begin function _ZN2at6native12_GLOBAL__N_128conv_depthwise3d_cuda_kernelIN3c108BFloat16EfLi3ELi3ELi3ELi1ELi1ELi1EEEvN5torch10headeronly6detail27GenericPackedTensorAccessorINS7_14TensorAccessorINS3_8ArrayRefIlEEKT_Lm4ENS6_16DefaultPtrTraitsEiEENS_6detail16IndexBoundsCheckILm5EiEESD_Lm5ESE_iEENS8_INS9_ISB_SC_Lm4ESE_iEESI_SC_Lm5ESE_iEESJ_PSD_iiiiiiiii
	.p2align	8
	.type	_ZN2at6native12_GLOBAL__N_128conv_depthwise3d_cuda_kernelIN3c108BFloat16EfLi3ELi3ELi3ELi1ELi1ELi1EEEvN5torch10headeronly6detail27GenericPackedTensorAccessorINS7_14TensorAccessorINS3_8ArrayRefIlEEKT_Lm4ENS6_16DefaultPtrTraitsEiEENS_6detail16IndexBoundsCheckILm5EiEESD_Lm5ESE_iEENS8_INS9_ISB_SC_Lm4ESE_iEESI_SC_Lm5ESE_iEESJ_PSD_iiiiiiiii,@function
_ZN2at6native12_GLOBAL__N_128conv_depthwise3d_cuda_kernelIN3c108BFloat16EfLi3ELi3ELi3ELi1ELi1ELi1EEEvN5torch10headeronly6detail27GenericPackedTensorAccessorINS7_14TensorAccessorINS3_8ArrayRefIlEEKT_Lm4ENS6_16DefaultPtrTraitsEiEENS_6detail16IndexBoundsCheckILm5EiEESD_Lm5ESE_iEENS8_INS9_ISB_SC_Lm4ESE_iEESI_SC_Lm5ESE_iEESJ_PSD_iiiiiiiii: ; @_ZN2at6native12_GLOBAL__N_128conv_depthwise3d_cuda_kernelIN3c108BFloat16EfLi3ELi3ELi3ELi1ELi1ELi1EEEvN5torch10headeronly6detail27GenericPackedTensorAccessorINS7_14TensorAccessorINS3_8ArrayRefIlEEKT_Lm4ENS6_16DefaultPtrTraitsEiEENS_6detail16IndexBoundsCheckILm5EiEESD_Lm5ESE_iEENS8_INS9_ISB_SC_Lm4ESE_iEESI_SC_Lm5ESE_iEESJ_PSD_iiiiiiiii
; %bb.0:
	s_load_dwordx4 s[28:31], s[4:5], 0xc
	s_load_dwordx4 s[36:39], s[4:5], 0x38
	s_load_dwordx2 s[34:35], s[4:5], 0x48
	s_load_dword s2, s[4:5], 0xcc
	v_mov_b32_e32 v1, 0
	s_waitcnt lgkmcnt(0)
	s_abs_i32 s3, s28
	v_cvt_f32_u32_e32 v2, s3
	s_add_u32 s0, s4, 0xc0
	v_mov_b32_e32 v3, s6
	s_mul_i32 s52, s35, s36
	v_rcp_iflag_f32_e32 v2, v2
	s_addc_u32 s1, s5, 0
	s_and_b32 s2, s2, 0xffff
	s_ashr_i32 s53, s52, 31
	v_mul_f32_e32 v2, 0x4f7ffffe, v2
	v_cvt_u32_f32_e32 v4, v2
	v_mad_u64_u32 v[2:3], s[8:9], s2, v3, v[0:1]
	v_cmp_gt_i64_e32 vcc, s[52:53], v[2:3]
	v_readfirstlane_b32 s7, v4
	s_and_saveexec_b64 s[8:9], vcc
	s_cbranch_execz .LBB9_59
; %bb.1:
	s_sub_i32 s9, 0, s3
	s_mul_i32 s9, s9, s7
	s_mul_hi_u32 s9, s7, s9
	s_ashr_i32 s8, s28, 31
	s_abs_i32 s28, s37
	s_add_i32 s7, s7, s9
	s_ashr_i32 s33, s37, 31
	s_mul_hi_u32 s7, s28, s7
	s_mul_hi_u32 s74, s2, s6
	s_mul_i32 s75, s2, s6
	s_xor_b32 s6, s33, s8
	s_mul_i32 s8, s7, s3
	s_sub_i32 s8, s28, s8
	s_add_i32 s9, s7, 1
	s_sub_i32 s10, s8, s3
	s_cmp_ge_u32 s8, s3
	s_cselect_b32 s7, s9, s7
	s_cselect_b32 s8, s10, s8
	s_add_i32 s9, s7, 1
	s_cmp_ge_u32 s8, s3
	s_cselect_b32 s3, s9, s7
	s_xor_b32 s3, s3, s6
	s_load_dwordx4 s[40:43], s[4:5], 0x98
	s_load_dwordx2 s[54:55], s[4:5], 0xa8
	s_sub_i32 s6, s3, s6
	s_load_dword s3, s[0:1], 0x0
	s_load_dwordx2 s[56:57], s[4:5], 0x90
	s_load_dword s76, s[4:5], 0x7c
	s_load_dwordx2 s[58:59], s[4:5], 0x0
	s_load_dwordx4 s[44:47], s[4:5], 0x1c
	s_load_dword s77, s[4:5], 0x2c
	s_load_dwordx2 s[60:61], s[4:5], 0x30
	s_add_i32 s0, s30, -3
	s_mul_i32 s0, s31, s0
	s_ashr_i32 s1, s0, 31
	s_waitcnt lgkmcnt(0)
	s_cmp_lg_u64 s[56:57], 0
	s_cselect_b64 s[62:63], -1, 0
	s_abs_i32 s78, s34
	v_cvt_f32_u32_e32 v2, s78
	s_abs_i32 s80, s39
	v_cvt_f32_u32_e32 v3, s80
	s_load_dwordx2 s[66:67], s[4:5], 0x60
	s_load_dwordx4 s[48:51], s[4:5], 0x50
	v_rcp_iflag_f32_e32 v2, v2
	s_sub_i32 s4, 0, s78
	v_rcp_iflag_f32_e32 v3, v3
	s_abs_i32 s82, s38
	v_mul_f32_e32 v2, 0x4f7ffffe, v2
	v_cvt_u32_f32_e32 v2, v2
	s_abs_i32 s85, s6
	v_cvt_f32_u32_e32 v5, s85
	s_mul_i32 s79, s3, s2
	v_mul_lo_u32 v4, s4, v2
	v_mul_hi_u32 v4, v2, v4
	v_add_u32_e32 v8, v2, v4
	v_mul_f32_e32 v2, 0x4f7ffffe, v3
	v_cvt_f32_u32_e32 v3, s82
	v_cvt_u32_f32_e32 v2, v2
	s_sub_i32 s4, 0, s80
	s_ashr_i32 s3, s31, 31
	v_rcp_iflag_f32_e32 v3, v3
	v_mul_lo_u32 v4, s4, v2
	v_mul_hi_u32 v4, v2, v4
	v_add_u32_e32 v9, v2, v4
	v_mul_f32_e32 v2, 0x4f7ffffe, v3
	v_cvt_u32_f32_e32 v2, v2
	v_cvt_f32_u32_e32 v3, s28
	s_sub_i32 s4, 0, s82
	s_mov_b32 s2, s31
	v_mul_lo_u32 v4, s4, v2
	v_rcp_iflag_f32_e32 v3, v3
	v_mul_hi_u32 v4, v2, v4
	v_add_u32_e32 v10, v2, v4
	v_rcp_iflag_f32_e32 v2, v5
	v_mul_f32_e32 v3, 0x4f7ffffe, v3
	v_cvt_u32_f32_e32 v3, v3
	s_sub_i32 s4, 0, s28
	v_mul_f32_e32 v2, 0x4f7ffffe, v2
	v_cvt_u32_f32_e32 v2, v2
	v_mul_lo_u32 v4, s4, v3
	v_mul_hi_u32 v4, v3, v4
	s_sub_i32 s4, 0, s85
	v_add_u32_e32 v11, v3, v4
	v_mul_lo_u32 v3, s4, v2
	v_mul_hi_u32 v3, v2, v3
	s_mov_b32 s36, 0
	s_mov_b64 s[64:65], 0
	s_ashr_i32 s81, s34, 31
	s_ashr_i32 s83, s39, 31
	;; [unrolled: 1-line block ×4, first 2 shown]
	v_add_u32_e32 v12, v2, v3
	s_waitcnt lgkmcnt(0)
	v_mov_b32_e32 v13, s67
	v_mov_b32_e32 v14, s59
	s_movk_i32 s59, 0x7fff
	s_lshl_b64 s[68:69], s[2:3], 1
	s_lshl_b64 s[70:71], s[0:1], 1
	v_mov_b32_e32 v15, 0x7fc0
	s_branch .LBB9_3
.LBB9_2:                                ;   in Loop: Header=BB9_3 Depth=1
	v_bfe_u32 v3, v20, 16, 1
	v_mul_lo_u32 v4, v19, s35
	v_add3_u32 v3, v20, v3, s59
	v_ashrrev_i32_e32 v5, 31, v4
	v_lshrrev_b32_e32 v3, 16, v3
	v_cmp_o_f32_e32 vcc, v20, v20
	v_lshlrev_b64 v[4:5], 1, v[4:5]
	v_cndmask_b32_e32 v6, v15, v3, vcc
	v_mov_b32_e32 v3, s61
	v_add_co_u32_e32 v4, vcc, s60, v4
	v_mul_lo_u32 v2, s48, v2
	v_addc_co_u32_e32 v5, vcc, v3, v5, vcc
	v_ashrrev_i32_e32 v3, 31, v2
	v_lshlrev_b64 v[2:3], 1, v[2:3]
	v_add_co_u32_e32 v4, vcc, v4, v2
	v_mul_lo_u32 v2, s49, v18
	v_addc_co_u32_e32 v5, vcc, v5, v3, vcc
	v_ashrrev_i32_e32 v3, 31, v2
	v_lshlrev_b64 v[2:3], 1, v[2:3]
	;; [unrolled: 5-line block ×4, first 2 shown]
	v_add_co_u32_e32 v2, vcc, v4, v2
	v_addc_co_u32_e32 v3, vcc, v5, v3, vcc
	v_mov_b32_e32 v4, s36
	v_add_co_u32_e32 v0, vcc, s79, v0
	v_addc_co_u32_e32 v1, vcc, v1, v4, vcc
	v_mov_b32_e32 v5, s74
	v_add_co_u32_e32 v4, vcc, s75, v0
	v_addc_co_u32_e32 v5, vcc, v5, v1, vcc
	v_cmp_le_i64_e32 vcc, s[52:53], v[4:5]
	s_or_b64 s[64:65], vcc, s[64:65]
	global_store_short v[2:3], v6, off
	s_andn2_b64 exec, exec, s[64:65]
	s_cbranch_execz .LBB9_59
.LBB9_3:                                ; =>This Inner Loop Header: Depth=1
	v_add_u32_e32 v2, s75, v0
	v_sub_u32_e32 v4, 0, v2
	v_max_i32_e32 v4, v2, v4
	v_mul_hi_u32 v5, v4, v8
	v_mul_lo_u32 v6, v5, s78
	v_sub_u32_e32 v4, v4, v6
	v_add_u32_e32 v6, 1, v5
	v_cmp_le_u32_e32 vcc, s78, v4
	v_cndmask_b32_e32 v5, v5, v6, vcc
	v_subrev_u32_e32 v6, s78, v4
	v_cndmask_b32_e32 v4, v4, v6, vcc
	v_ashrrev_i32_e32 v3, 31, v2
	v_add_u32_e32 v6, 1, v5
	v_cmp_le_u32_e32 vcc, s78, v4
	v_xor_b32_e32 v3, s81, v3
	v_cndmask_b32_e32 v4, v5, v6, vcc
	v_xor_b32_e32 v4, v4, v3
	v_sub_u32_e32 v3, v4, v3
	v_mul_lo_u32 v4, v3, s34
	v_sub_u32_e32 v16, v2, v4
	v_sub_u32_e32 v4, 0, v3
	v_max_i32_e32 v4, v3, v4
	v_mul_hi_u32 v5, v4, v9
	v_mul_lo_u32 v6, v5, s80
	v_sub_u32_e32 v4, v4, v6
	v_add_u32_e32 v6, 1, v5
	v_cmp_le_u32_e32 vcc, s80, v4
	v_cndmask_b32_e32 v5, v5, v6, vcc
	v_subrev_u32_e32 v6, s80, v4
	v_cndmask_b32_e32 v4, v4, v6, vcc
	v_ashrrev_i32_e32 v2, 31, v3
	v_add_u32_e32 v6, 1, v5
	v_cmp_le_u32_e32 vcc, s80, v4
	v_xor_b32_e32 v2, s83, v2
	v_cndmask_b32_e32 v4, v5, v6, vcc
	v_xor_b32_e32 v4, v4, v2
	v_sub_u32_e32 v2, v4, v2
	v_mul_lo_u32 v4, v2, s39
	v_sub_u32_e32 v17, v3, v4
	;; [unrolled: 19-line block ×4, first 2 shown]
	v_sub_u32_e32 v5, 0, v2
	v_max_i32_e32 v5, v2, v5
	v_mul_hi_u32 v6, v5, v12
	v_mul_lo_u32 v7, v6, s85
	v_sub_u32_e32 v5, v5, v7
	v_add_u32_e32 v7, 1, v6
	v_cmp_le_u32_e32 vcc, s85, v5
	v_cndmask_b32_e32 v6, v6, v7, vcc
	v_subrev_u32_e32 v7, s85, v5
	v_cndmask_b32_e32 v5, v5, v7, vcc
	v_ashrrev_i32_e32 v3, 31, v2
	v_add_u32_e32 v7, 1, v6
	v_cmp_le_u32_e32 vcc, s85, v5
	v_xor_b32_e32 v4, s86, v3
	v_cndmask_b32_e32 v5, v6, v7, vcc
	v_xor_b32_e32 v5, v5, v4
	v_sub_u32_e32 v20, v5, v4
	v_mul_lo_u32 v4, v16, s42
	v_subrev_u32_e32 v23, s55, v4
	v_mul_lo_u32 v4, v17, s41
	v_subrev_u32_e32 v22, s54, v4
	;; [unrolled: 2-line block ×3, first 2 shown]
	v_mul_lo_u32 v4, s76, v2
	v_ashrrev_i32_e32 v5, 31, v4
	v_lshlrev_b64 v[4:5], 1, v[4:5]
	v_mul_lo_u32 v6, s44, v19
	v_add_co_u32_e32 v4, vcc, s66, v4
	v_ashrrev_i32_e32 v7, 31, v6
	v_addc_co_u32_e32 v5, vcc, v13, v5, vcc
	v_lshlrev_b64 v[6:7], 1, v[6:7]
	v_add_co_u32_e32 v24, vcc, s58, v6
	v_mul_lo_u32 v6, s45, v20
	v_addc_co_u32_e32 v25, vcc, v14, v7, vcc
	v_ashrrev_i32_e32 v7, 31, v6
	v_lshlrev_b64 v[6:7], 1, v[6:7]
	v_add_co_u32_e32 v20, vcc, v24, v6
	v_mul_lo_u32 v6, s46, v21
	v_addc_co_u32_e32 v24, vcc, v25, v7, vcc
	v_ashrrev_i32_e32 v7, 31, v6
	;; [unrolled: 5-line block ×4, first 2 shown]
	v_lshlrev_b64 v[6:7], 1, v[6:7]
	v_add_co_u32_e32 v6, vcc, v20, v6
	v_addc_co_u32_e32 v7, vcc, v24, v7, vcc
	v_cmp_lt_i32_e64 s[14:15], -1, v21
	v_cmp_lt_i32_e64 s[16:17], -1, v22
	s_and_b64 s[8:9], s[14:15], s[16:17]
	v_cmp_lt_i32_e32 vcc, -1, v23
	v_cmp_gt_i32_e64 s[22:23], s29, v21
	s_and_b64 s[0:1], s[8:9], vcc
	v_cmp_gt_i32_e64 s[10:11], s30, v22
	s_and_b64 s[0:1], s[0:1], s[22:23]
	s_and_b64 s[2:3], s[0:1], s[10:11]
	v_cmp_gt_i32_e64 s[0:1], s31, v23
	s_and_b64 s[4:5], s[2:3], s[0:1]
	v_mov_b32_e32 v20, 0
	s_and_saveexec_b64 s[2:3], s[4:5]
	s_cbranch_execz .LBB9_5
; %bb.4:                                ;   in Loop: Header=BB9_3 Depth=1
	global_load_ushort v20, v[4:5], off
	global_load_ushort v24, v[6:7], off
	s_waitcnt vmcnt(1)
	v_lshlrev_b32_e32 v20, 16, v20
	s_waitcnt vmcnt(0)
	v_lshlrev_b32_e32 v24, 16, v24
	v_fma_f32 v20, v24, v20, 0
.LBB9_5:                                ;   in Loop: Header=BB9_3 Depth=1
	s_or_b64 exec, exec, s[2:3]
	v_cmp_lt_i32_e64 s[2:3], -2, v23
	s_and_b64 s[4:5], s[8:9], s[2:3]
	v_add_u32_e32 v24, 1, v23
	s_and_b64 s[4:5], s[4:5], s[22:23]
	s_and_b64 s[6:7], s[4:5], s[10:11]
	v_cmp_gt_i32_e64 s[4:5], s31, v24
	s_and_b64 s[12:13], s[6:7], s[4:5]
	s_and_saveexec_b64 s[6:7], s[12:13]
	s_cbranch_execz .LBB9_7
; %bb.6:                                ;   in Loop: Header=BB9_3 Depth=1
	global_load_ushort v24, v[4:5], off offset:2
	global_load_ushort v25, v[6:7], off offset:2
	s_waitcnt vmcnt(1)
	v_lshlrev_b32_e32 v24, 16, v24
	s_waitcnt vmcnt(0)
	v_lshlrev_b32_e32 v25, 16, v25
	v_fmac_f32_e32 v20, v25, v24
.LBB9_7:                                ;   in Loop: Header=BB9_3 Depth=1
	s_or_b64 exec, exec, s[6:7]
	v_cmp_lt_i32_e64 s[6:7], -3, v23
	s_and_b64 s[8:9], s[8:9], s[6:7]
	v_add_u32_e32 v24, 2, v23
	s_and_b64 s[8:9], s[8:9], s[22:23]
	s_and_b64 s[12:13], s[8:9], s[10:11]
	v_cmp_gt_i32_e64 s[8:9], s31, v24
	s_and_b64 s[18:19], s[12:13], s[8:9]
	s_and_saveexec_b64 s[12:13], s[18:19]
	s_cbranch_execz .LBB9_9
; %bb.8:                                ;   in Loop: Header=BB9_3 Depth=1
	global_load_ushort v23, v[4:5], off offset:4
	global_load_ushort v24, v[6:7], off offset:4
	s_waitcnt vmcnt(1)
	v_lshlrev_b32_e32 v23, 16, v23
	s_waitcnt vmcnt(0)
	v_lshlrev_b32_e32 v24, 16, v24
	v_fmac_f32_e32 v20, v24, v23
.LBB9_9:                                ;   in Loop: Header=BB9_3 Depth=1
	s_or_b64 exec, exec, s[12:13]
	v_cmp_lt_i32_e64 s[18:19], -2, v22
	v_mov_b32_e32 v23, s69
	v_add_co_u32_e64 v6, s[12:13], s68, v6
	s_and_b64 s[20:21], s[14:15], s[18:19]
	v_addc_co_u32_e64 v7, s[12:13], v7, v23, s[12:13]
	v_add_u32_e32 v23, 1, v22
	s_and_b64 s[24:25], s[20:21], vcc
	v_cmp_gt_i32_e64 s[12:13], s30, v23
	s_and_b64 s[24:25], s[24:25], s[22:23]
	s_and_b64 s[24:25], s[24:25], s[12:13]
	;; [unrolled: 1-line block ×3, first 2 shown]
	s_and_saveexec_b64 s[24:25], s[26:27]
	s_cbranch_execz .LBB9_11
; %bb.10:                               ;   in Loop: Header=BB9_3 Depth=1
	global_load_ushort v23, v[4:5], off offset:6
	global_load_ushort v24, v[6:7], off
	s_waitcnt vmcnt(1)
	v_lshlrev_b32_e32 v23, 16, v23
	s_waitcnt vmcnt(0)
	v_lshlrev_b32_e32 v24, 16, v24
	v_fmac_f32_e32 v20, v24, v23
.LBB9_11:                               ;   in Loop: Header=BB9_3 Depth=1
	s_or_b64 exec, exec, s[24:25]
	s_and_b64 s[24:25], s[20:21], s[2:3]
	s_and_b64 s[24:25], s[24:25], s[22:23]
	s_and_b64 s[24:25], s[24:25], s[12:13]
	s_and_b64 s[26:27], s[24:25], s[4:5]
	s_and_saveexec_b64 s[24:25], s[26:27]
	s_cbranch_execz .LBB9_13
; %bb.12:                               ;   in Loop: Header=BB9_3 Depth=1
	global_load_ushort v23, v[4:5], off offset:8
	global_load_ushort v24, v[6:7], off offset:2
	s_waitcnt vmcnt(1)
	v_lshlrev_b32_e32 v23, 16, v23
	s_waitcnt vmcnt(0)
	v_lshlrev_b32_e32 v24, 16, v24
	v_fmac_f32_e32 v20, v24, v23
.LBB9_13:                               ;   in Loop: Header=BB9_3 Depth=1
	s_or_b64 exec, exec, s[24:25]
	s_and_b64 s[20:21], s[20:21], s[6:7]
	s_and_b64 s[20:21], s[20:21], s[22:23]
	;; [unrolled: 1-line block ×4, first 2 shown]
	s_and_saveexec_b64 s[20:21], s[24:25]
	s_cbranch_execz .LBB9_15
; %bb.14:                               ;   in Loop: Header=BB9_3 Depth=1
	global_load_ushort v23, v[4:5], off offset:10
	global_load_ushort v24, v[6:7], off offset:4
	s_waitcnt vmcnt(1)
	v_lshlrev_b32_e32 v23, 16, v23
	s_waitcnt vmcnt(0)
	v_lshlrev_b32_e32 v24, 16, v24
	v_fmac_f32_e32 v20, v24, v23
.LBB9_15:                               ;   in Loop: Header=BB9_3 Depth=1
	s_or_b64 exec, exec, s[20:21]
	v_mov_b32_e32 v23, s69
	v_add_co_u32_e64 v6, s[20:21], s68, v6
	v_addc_co_u32_e64 v7, s[20:21], v7, v23, s[20:21]
	v_cmp_lt_i32_e64 s[20:21], -3, v22
	s_and_b64 s[24:25], s[14:15], s[20:21]
	v_add_u32_e32 v23, 2, v22
	s_and_b64 s[26:27], s[24:25], vcc
	v_cmp_gt_i32_e64 s[14:15], s30, v23
	s_and_b64 s[26:27], s[26:27], s[22:23]
	s_and_b64 s[26:27], s[26:27], s[14:15]
	;; [unrolled: 1-line block ×3, first 2 shown]
	s_and_saveexec_b64 s[26:27], s[72:73]
	s_cbranch_execz .LBB9_17
; %bb.16:                               ;   in Loop: Header=BB9_3 Depth=1
	global_load_ushort v22, v[4:5], off offset:12
	global_load_ushort v23, v[6:7], off
	s_waitcnt vmcnt(1)
	v_lshlrev_b32_e32 v22, 16, v22
	s_waitcnt vmcnt(0)
	v_lshlrev_b32_e32 v23, 16, v23
	v_fmac_f32_e32 v20, v23, v22
.LBB9_17:                               ;   in Loop: Header=BB9_3 Depth=1
	s_or_b64 exec, exec, s[26:27]
	s_and_b64 s[26:27], s[24:25], s[2:3]
	s_and_b64 s[26:27], s[26:27], s[22:23]
	;; [unrolled: 1-line block ×4, first 2 shown]
	s_and_saveexec_b64 s[26:27], s[72:73]
	s_cbranch_execz .LBB9_19
; %bb.18:                               ;   in Loop: Header=BB9_3 Depth=1
	global_load_ushort v22, v[4:5], off offset:14
	global_load_ushort v23, v[6:7], off offset:2
	s_waitcnt vmcnt(1)
	v_lshlrev_b32_e32 v22, 16, v22
	s_waitcnt vmcnt(0)
	v_lshlrev_b32_e32 v23, 16, v23
	v_fmac_f32_e32 v20, v23, v22
.LBB9_19:                               ;   in Loop: Header=BB9_3 Depth=1
	s_or_b64 exec, exec, s[26:27]
	s_and_b64 s[24:25], s[24:25], s[6:7]
	s_and_b64 s[22:23], s[24:25], s[22:23]
	;; [unrolled: 1-line block ×4, first 2 shown]
	s_and_saveexec_b64 s[22:23], s[24:25]
	s_cbranch_execz .LBB9_21
; %bb.20:                               ;   in Loop: Header=BB9_3 Depth=1
	global_load_ushort v22, v[4:5], off offset:16
	global_load_ushort v23, v[6:7], off offset:4
	s_waitcnt vmcnt(1)
	v_lshlrev_b32_e32 v22, 16, v22
	s_waitcnt vmcnt(0)
	v_lshlrev_b32_e32 v23, 16, v23
	v_fmac_f32_e32 v20, v23, v22
.LBB9_21:                               ;   in Loop: Header=BB9_3 Depth=1
	s_or_b64 exec, exec, s[22:23]
	s_add_u32 s22, s70, s68
	s_addc_u32 s23, s71, s69
	v_mov_b32_e32 v22, s23
	v_add_co_u32_e64 v6, s[22:23], s22, v6
	v_cmp_lt_i32_e64 s[24:25], -2, v21
	v_addc_co_u32_e64 v7, s[22:23], v22, v7, s[22:23]
	v_add_u32_e32 v22, 1, v21
	s_and_b64 s[26:27], s[24:25], s[16:17]
	v_cmp_gt_i32_e64 s[22:23], s29, v22
	s_and_b64 s[72:73], s[26:27], vcc
	s_and_b64 s[72:73], s[72:73], s[22:23]
	s_and_b64 s[72:73], s[72:73], s[10:11]
	;; [unrolled: 1-line block ×3, first 2 shown]
	s_and_saveexec_b64 s[72:73], s[88:89]
	s_cbranch_execz .LBB9_23
; %bb.22:                               ;   in Loop: Header=BB9_3 Depth=1
	global_load_ushort v22, v[4:5], off offset:18
	global_load_ushort v23, v[6:7], off
	s_waitcnt vmcnt(1)
	v_lshlrev_b32_e32 v22, 16, v22
	s_waitcnt vmcnt(0)
	v_lshlrev_b32_e32 v23, 16, v23
	v_fmac_f32_e32 v20, v23, v22
.LBB9_23:                               ;   in Loop: Header=BB9_3 Depth=1
	s_or_b64 exec, exec, s[72:73]
	s_and_b64 s[72:73], s[26:27], s[2:3]
	s_and_b64 s[72:73], s[72:73], s[22:23]
	;; [unrolled: 1-line block ×4, first 2 shown]
	s_and_saveexec_b64 s[72:73], s[88:89]
	s_cbranch_execz .LBB9_25
; %bb.24:                               ;   in Loop: Header=BB9_3 Depth=1
	global_load_ushort v22, v[4:5], off offset:20
	global_load_ushort v23, v[6:7], off offset:2
	s_waitcnt vmcnt(1)
	v_lshlrev_b32_e32 v22, 16, v22
	s_waitcnt vmcnt(0)
	v_lshlrev_b32_e32 v23, 16, v23
	v_fmac_f32_e32 v20, v23, v22
.LBB9_25:                               ;   in Loop: Header=BB9_3 Depth=1
	s_or_b64 exec, exec, s[72:73]
	s_and_b64 s[26:27], s[26:27], s[6:7]
	s_and_b64 s[26:27], s[26:27], s[22:23]
	;; [unrolled: 1-line block ×4, first 2 shown]
	s_and_saveexec_b64 s[26:27], s[72:73]
	s_cbranch_execz .LBB9_27
; %bb.26:                               ;   in Loop: Header=BB9_3 Depth=1
	global_load_ushort v22, v[4:5], off offset:22
	global_load_ushort v23, v[6:7], off offset:4
	s_waitcnt vmcnt(1)
	v_lshlrev_b32_e32 v22, 16, v22
	s_waitcnt vmcnt(0)
	v_lshlrev_b32_e32 v23, 16, v23
	v_fmac_f32_e32 v20, v23, v22
.LBB9_27:                               ;   in Loop: Header=BB9_3 Depth=1
	s_or_b64 exec, exec, s[26:27]
	v_mov_b32_e32 v22, s69
	v_add_co_u32_e64 v6, s[26:27], s68, v6
	v_addc_co_u32_e64 v7, s[26:27], v7, v22, s[26:27]
	s_and_b64 s[26:27], s[24:25], s[18:19]
	s_and_b64 s[72:73], s[26:27], vcc
	s_and_b64 s[72:73], s[72:73], s[22:23]
	s_and_b64 s[72:73], s[72:73], s[12:13]
	s_and_b64 s[88:89], s[72:73], s[0:1]
	s_and_saveexec_b64 s[72:73], s[88:89]
	s_cbranch_execz .LBB9_29
; %bb.28:                               ;   in Loop: Header=BB9_3 Depth=1
	global_load_ushort v22, v[4:5], off offset:24
	global_load_ushort v23, v[6:7], off
	s_waitcnt vmcnt(1)
	v_lshlrev_b32_e32 v22, 16, v22
	s_waitcnt vmcnt(0)
	v_lshlrev_b32_e32 v23, 16, v23
	v_fmac_f32_e32 v20, v23, v22
.LBB9_29:                               ;   in Loop: Header=BB9_3 Depth=1
	s_or_b64 exec, exec, s[72:73]
	s_and_b64 s[72:73], s[26:27], s[2:3]
	s_and_b64 s[72:73], s[72:73], s[22:23]
	;; [unrolled: 1-line block ×4, first 2 shown]
	s_and_saveexec_b64 s[72:73], s[88:89]
	s_cbranch_execz .LBB9_31
; %bb.30:                               ;   in Loop: Header=BB9_3 Depth=1
	global_load_ushort v22, v[4:5], off offset:26
	global_load_ushort v23, v[6:7], off offset:2
	s_waitcnt vmcnt(1)
	v_lshlrev_b32_e32 v22, 16, v22
	s_waitcnt vmcnt(0)
	v_lshlrev_b32_e32 v23, 16, v23
	v_fmac_f32_e32 v20, v23, v22
.LBB9_31:                               ;   in Loop: Header=BB9_3 Depth=1
	s_or_b64 exec, exec, s[72:73]
	s_and_b64 s[26:27], s[26:27], s[6:7]
	s_and_b64 s[26:27], s[26:27], s[22:23]
	s_and_b64 s[26:27], s[26:27], s[12:13]
	s_and_b64 s[72:73], s[26:27], s[8:9]
	s_and_saveexec_b64 s[26:27], s[72:73]
	s_cbranch_execz .LBB9_33
; %bb.32:                               ;   in Loop: Header=BB9_3 Depth=1
	global_load_ushort v22, v[4:5], off offset:28
	global_load_ushort v23, v[6:7], off offset:4
	s_waitcnt vmcnt(1)
	v_lshlrev_b32_e32 v22, 16, v22
	s_waitcnt vmcnt(0)
	v_lshlrev_b32_e32 v23, 16, v23
	v_fmac_f32_e32 v20, v23, v22
.LBB9_33:                               ;   in Loop: Header=BB9_3 Depth=1
	s_or_b64 exec, exec, s[26:27]
	v_mov_b32_e32 v22, s69
	v_add_co_u32_e64 v6, s[26:27], s68, v6
	v_addc_co_u32_e64 v7, s[26:27], v7, v22, s[26:27]
	s_and_b64 s[24:25], s[24:25], s[20:21]
	s_and_b64 s[26:27], s[24:25], vcc
	s_and_b64 s[26:27], s[26:27], s[22:23]
	s_and_b64 s[26:27], s[26:27], s[14:15]
	;; [unrolled: 1-line block ×3, first 2 shown]
	s_and_saveexec_b64 s[26:27], s[72:73]
	s_cbranch_execz .LBB9_35
; %bb.34:                               ;   in Loop: Header=BB9_3 Depth=1
	global_load_ushort v22, v[4:5], off offset:30
	global_load_ushort v23, v[6:7], off
	s_waitcnt vmcnt(1)
	v_lshlrev_b32_e32 v22, 16, v22
	s_waitcnt vmcnt(0)
	v_lshlrev_b32_e32 v23, 16, v23
	v_fmac_f32_e32 v20, v23, v22
.LBB9_35:                               ;   in Loop: Header=BB9_3 Depth=1
	s_or_b64 exec, exec, s[26:27]
	s_and_b64 s[26:27], s[24:25], s[2:3]
	s_and_b64 s[26:27], s[26:27], s[22:23]
	s_and_b64 s[26:27], s[26:27], s[14:15]
	s_and_b64 s[72:73], s[26:27], s[4:5]
	s_and_saveexec_b64 s[26:27], s[72:73]
	s_cbranch_execz .LBB9_37
; %bb.36:                               ;   in Loop: Header=BB9_3 Depth=1
	global_load_ushort v22, v[4:5], off offset:32
	global_load_ushort v23, v[6:7], off offset:2
	s_waitcnt vmcnt(1)
	v_lshlrev_b32_e32 v22, 16, v22
	s_waitcnt vmcnt(0)
	v_lshlrev_b32_e32 v23, 16, v23
	v_fmac_f32_e32 v20, v23, v22
.LBB9_37:                               ;   in Loop: Header=BB9_3 Depth=1
	s_or_b64 exec, exec, s[26:27]
	s_and_b64 s[24:25], s[24:25], s[6:7]
	s_and_b64 s[22:23], s[24:25], s[22:23]
	;; [unrolled: 1-line block ×4, first 2 shown]
	s_and_saveexec_b64 s[22:23], s[24:25]
	s_cbranch_execz .LBB9_39
; %bb.38:                               ;   in Loop: Header=BB9_3 Depth=1
	global_load_ushort v22, v[4:5], off offset:34
	global_load_ushort v23, v[6:7], off offset:4
	s_waitcnt vmcnt(1)
	v_lshlrev_b32_e32 v22, 16, v22
	s_waitcnt vmcnt(0)
	v_lshlrev_b32_e32 v23, 16, v23
	v_fmac_f32_e32 v20, v23, v22
.LBB9_39:                               ;   in Loop: Header=BB9_3 Depth=1
	s_or_b64 exec, exec, s[22:23]
	s_add_u32 s22, s70, s68
	s_addc_u32 s23, s71, s69
	v_mov_b32_e32 v22, s23
	v_add_co_u32_e64 v6, s[22:23], s22, v6
	v_cmp_lt_i32_e64 s[24:25], -3, v21
	v_addc_co_u32_e64 v7, s[22:23], v22, v7, s[22:23]
	v_add_u32_e32 v22, 2, v21
	s_and_b64 s[16:17], s[24:25], s[16:17]
	v_cmp_gt_i32_e64 s[22:23], s29, v22
	s_and_b64 s[26:27], s[16:17], vcc
	s_and_b64 s[26:27], s[26:27], s[22:23]
	s_and_b64 s[26:27], s[26:27], s[10:11]
	;; [unrolled: 1-line block ×3, first 2 shown]
	s_and_saveexec_b64 s[26:27], s[72:73]
	s_cbranch_execz .LBB9_41
; %bb.40:                               ;   in Loop: Header=BB9_3 Depth=1
	global_load_ushort v21, v[4:5], off offset:36
	global_load_ushort v22, v[6:7], off
	s_waitcnt vmcnt(1)
	v_lshlrev_b32_e32 v21, 16, v21
	s_waitcnt vmcnt(0)
	v_lshlrev_b32_e32 v22, 16, v22
	v_fmac_f32_e32 v20, v22, v21
.LBB9_41:                               ;   in Loop: Header=BB9_3 Depth=1
	s_or_b64 exec, exec, s[26:27]
	s_and_b64 s[26:27], s[16:17], s[2:3]
	s_and_b64 s[26:27], s[26:27], s[22:23]
	s_and_b64 s[26:27], s[26:27], s[10:11]
	s_and_b64 s[72:73], s[26:27], s[4:5]
	s_and_saveexec_b64 s[26:27], s[72:73]
	s_cbranch_execz .LBB9_43
; %bb.42:                               ;   in Loop: Header=BB9_3 Depth=1
	global_load_ushort v21, v[4:5], off offset:38
	global_load_ushort v22, v[6:7], off offset:2
	s_waitcnt vmcnt(1)
	v_lshlrev_b32_e32 v21, 16, v21
	s_waitcnt vmcnt(0)
	v_lshlrev_b32_e32 v22, 16, v22
	v_fmac_f32_e32 v20, v22, v21
.LBB9_43:                               ;   in Loop: Header=BB9_3 Depth=1
	s_or_b64 exec, exec, s[26:27]
	s_and_b64 s[16:17], s[16:17], s[6:7]
	s_and_b64 s[16:17], s[16:17], s[22:23]
	;; [unrolled: 1-line block ×4, first 2 shown]
	s_and_saveexec_b64 s[10:11], s[16:17]
	s_cbranch_execz .LBB9_45
; %bb.44:                               ;   in Loop: Header=BB9_3 Depth=1
	global_load_ushort v21, v[4:5], off offset:40
	global_load_ushort v22, v[6:7], off offset:4
	s_waitcnt vmcnt(1)
	v_lshlrev_b32_e32 v21, 16, v21
	s_waitcnt vmcnt(0)
	v_lshlrev_b32_e32 v22, 16, v22
	v_fmac_f32_e32 v20, v22, v21
.LBB9_45:                               ;   in Loop: Header=BB9_3 Depth=1
	s_or_b64 exec, exec, s[10:11]
	v_mov_b32_e32 v21, s69
	v_add_co_u32_e64 v6, s[10:11], s68, v6
	v_addc_co_u32_e64 v7, s[10:11], v7, v21, s[10:11]
	s_and_b64 s[10:11], s[24:25], s[18:19]
	s_and_b64 s[16:17], s[10:11], vcc
	s_and_b64 s[16:17], s[16:17], s[22:23]
	s_and_b64 s[16:17], s[16:17], s[12:13]
	s_and_b64 s[18:19], s[16:17], s[0:1]
	s_and_saveexec_b64 s[16:17], s[18:19]
	s_cbranch_execz .LBB9_47
; %bb.46:                               ;   in Loop: Header=BB9_3 Depth=1
	global_load_ushort v21, v[4:5], off offset:42
	global_load_ushort v22, v[6:7], off
	s_waitcnt vmcnt(1)
	v_lshlrev_b32_e32 v21, 16, v21
	s_waitcnt vmcnt(0)
	v_lshlrev_b32_e32 v22, 16, v22
	v_fmac_f32_e32 v20, v22, v21
.LBB9_47:                               ;   in Loop: Header=BB9_3 Depth=1
	s_or_b64 exec, exec, s[16:17]
	s_and_b64 s[16:17], s[10:11], s[2:3]
	s_and_b64 s[16:17], s[16:17], s[22:23]
	s_and_b64 s[16:17], s[16:17], s[12:13]
	s_and_b64 s[18:19], s[16:17], s[4:5]
	s_and_saveexec_b64 s[16:17], s[18:19]
	s_cbranch_execz .LBB9_49
; %bb.48:                               ;   in Loop: Header=BB9_3 Depth=1
	global_load_ushort v21, v[4:5], off offset:44
	global_load_ushort v22, v[6:7], off offset:2
	s_waitcnt vmcnt(1)
	v_lshlrev_b32_e32 v21, 16, v21
	s_waitcnt vmcnt(0)
	v_lshlrev_b32_e32 v22, 16, v22
	v_fmac_f32_e32 v20, v22, v21
.LBB9_49:                               ;   in Loop: Header=BB9_3 Depth=1
	s_or_b64 exec, exec, s[16:17]
	s_and_b64 s[10:11], s[10:11], s[6:7]
	s_and_b64 s[10:11], s[10:11], s[22:23]
	;; [unrolled: 1-line block ×4, first 2 shown]
	s_and_saveexec_b64 s[10:11], s[12:13]
	s_cbranch_execz .LBB9_51
; %bb.50:                               ;   in Loop: Header=BB9_3 Depth=1
	global_load_ushort v21, v[4:5], off offset:46
	global_load_ushort v22, v[6:7], off offset:4
	s_waitcnt vmcnt(1)
	v_lshlrev_b32_e32 v21, 16, v21
	s_waitcnt vmcnt(0)
	v_lshlrev_b32_e32 v22, 16, v22
	v_fmac_f32_e32 v20, v22, v21
.LBB9_51:                               ;   in Loop: Header=BB9_3 Depth=1
	s_or_b64 exec, exec, s[10:11]
	v_mov_b32_e32 v21, s69
	v_add_co_u32_e64 v6, s[10:11], s68, v6
	v_addc_co_u32_e64 v7, s[10:11], v7, v21, s[10:11]
	s_and_b64 s[10:11], s[24:25], s[20:21]
	s_and_b64 s[12:13], s[10:11], vcc
	s_and_b64 s[12:13], s[12:13], s[22:23]
	s_and_b64 s[12:13], s[12:13], s[14:15]
	;; [unrolled: 1-line block ×3, first 2 shown]
	s_and_saveexec_b64 s[0:1], s[12:13]
	s_cbranch_execz .LBB9_53
; %bb.52:                               ;   in Loop: Header=BB9_3 Depth=1
	global_load_ushort v21, v[4:5], off offset:48
	global_load_ushort v22, v[6:7], off
	s_waitcnt vmcnt(1)
	v_lshlrev_b32_e32 v21, 16, v21
	s_waitcnt vmcnt(0)
	v_lshlrev_b32_e32 v22, 16, v22
	v_fmac_f32_e32 v20, v22, v21
.LBB9_53:                               ;   in Loop: Header=BB9_3 Depth=1
	s_or_b64 exec, exec, s[0:1]
	s_and_b64 s[0:1], s[10:11], s[2:3]
	s_and_b64 s[0:1], s[0:1], s[22:23]
	;; [unrolled: 1-line block ×4, first 2 shown]
	s_and_saveexec_b64 s[0:1], s[2:3]
	s_cbranch_execz .LBB9_55
; %bb.54:                               ;   in Loop: Header=BB9_3 Depth=1
	global_load_ushort v21, v[4:5], off offset:50
	global_load_ushort v22, v[6:7], off offset:2
	s_waitcnt vmcnt(1)
	v_lshlrev_b32_e32 v21, 16, v21
	s_waitcnt vmcnt(0)
	v_lshlrev_b32_e32 v22, 16, v22
	v_fmac_f32_e32 v20, v22, v21
.LBB9_55:                               ;   in Loop: Header=BB9_3 Depth=1
	s_or_b64 exec, exec, s[0:1]
	s_and_b64 s[0:1], s[10:11], s[6:7]
	s_and_b64 s[0:1], s[0:1], s[22:23]
	;; [unrolled: 1-line block ×4, first 2 shown]
	s_and_saveexec_b64 s[0:1], s[2:3]
	s_cbranch_execz .LBB9_57
; %bb.56:                               ;   in Loop: Header=BB9_3 Depth=1
	global_load_ushort v4, v[4:5], off offset:52
	s_nop 0
	global_load_ushort v5, v[6:7], off offset:4
	s_waitcnt vmcnt(1)
	v_lshlrev_b32_e32 v4, 16, v4
	s_waitcnt vmcnt(0)
	v_lshlrev_b32_e32 v5, 16, v5
	v_fmac_f32_e32 v20, v5, v4
.LBB9_57:                               ;   in Loop: Header=BB9_3 Depth=1
	s_or_b64 exec, exec, s[0:1]
	s_andn2_b64 vcc, exec, s[62:63]
	s_cbranch_vccnz .LBB9_2
; %bb.58:                               ;   in Loop: Header=BB9_3 Depth=1
	v_lshlrev_b64 v[4:5], 1, v[2:3]
	v_mov_b32_e32 v3, s57
	v_add_co_u32_e32 v4, vcc, s56, v4
	v_addc_co_u32_e32 v5, vcc, v3, v5, vcc
	global_load_ushort v3, v[4:5], off
	s_waitcnt vmcnt(0)
	v_lshlrev_b32_e32 v3, 16, v3
	v_add_f32_e32 v20, v20, v3
	s_branch .LBB9_2
.LBB9_59:
	s_endpgm
	.section	.rodata,"a",@progbits
	.p2align	6, 0x0
	.amdhsa_kernel _ZN2at6native12_GLOBAL__N_128conv_depthwise3d_cuda_kernelIN3c108BFloat16EfLi3ELi3ELi3ELi1ELi1ELi1EEEvN5torch10headeronly6detail27GenericPackedTensorAccessorINS7_14TensorAccessorINS3_8ArrayRefIlEEKT_Lm4ENS6_16DefaultPtrTraitsEiEENS_6detail16IndexBoundsCheckILm5EiEESD_Lm5ESE_iEENS8_INS9_ISB_SC_Lm4ESE_iEESI_SC_Lm5ESE_iEESJ_PSD_iiiiiiiii
		.amdhsa_group_segment_fixed_size 0
		.amdhsa_private_segment_fixed_size 0
		.amdhsa_kernarg_size 448
		.amdhsa_user_sgpr_count 6
		.amdhsa_user_sgpr_private_segment_buffer 1
		.amdhsa_user_sgpr_dispatch_ptr 0
		.amdhsa_user_sgpr_queue_ptr 0
		.amdhsa_user_sgpr_kernarg_segment_ptr 1
		.amdhsa_user_sgpr_dispatch_id 0
		.amdhsa_user_sgpr_flat_scratch_init 0
		.amdhsa_user_sgpr_kernarg_preload_length 0
		.amdhsa_user_sgpr_kernarg_preload_offset 0
		.amdhsa_user_sgpr_private_segment_size 0
		.amdhsa_uses_dynamic_stack 0
		.amdhsa_system_sgpr_private_segment_wavefront_offset 0
		.amdhsa_system_sgpr_workgroup_id_x 1
		.amdhsa_system_sgpr_workgroup_id_y 0
		.amdhsa_system_sgpr_workgroup_id_z 0
		.amdhsa_system_sgpr_workgroup_info 0
		.amdhsa_system_vgpr_workitem_id 0
		.amdhsa_next_free_vgpr 26
		.amdhsa_next_free_sgpr 90
		.amdhsa_accum_offset 28
		.amdhsa_reserve_vcc 1
		.amdhsa_reserve_flat_scratch 0
		.amdhsa_float_round_mode_32 0
		.amdhsa_float_round_mode_16_64 0
		.amdhsa_float_denorm_mode_32 3
		.amdhsa_float_denorm_mode_16_64 3
		.amdhsa_dx10_clamp 1
		.amdhsa_ieee_mode 1
		.amdhsa_fp16_overflow 0
		.amdhsa_tg_split 0
		.amdhsa_exception_fp_ieee_invalid_op 0
		.amdhsa_exception_fp_denorm_src 0
		.amdhsa_exception_fp_ieee_div_zero 0
		.amdhsa_exception_fp_ieee_overflow 0
		.amdhsa_exception_fp_ieee_underflow 0
		.amdhsa_exception_fp_ieee_inexact 0
		.amdhsa_exception_int_div_zero 0
	.end_amdhsa_kernel
	.section	.text._ZN2at6native12_GLOBAL__N_128conv_depthwise3d_cuda_kernelIN3c108BFloat16EfLi3ELi3ELi3ELi1ELi1ELi1EEEvN5torch10headeronly6detail27GenericPackedTensorAccessorINS7_14TensorAccessorINS3_8ArrayRefIlEEKT_Lm4ENS6_16DefaultPtrTraitsEiEENS_6detail16IndexBoundsCheckILm5EiEESD_Lm5ESE_iEENS8_INS9_ISB_SC_Lm4ESE_iEESI_SC_Lm5ESE_iEESJ_PSD_iiiiiiiii,"axG",@progbits,_ZN2at6native12_GLOBAL__N_128conv_depthwise3d_cuda_kernelIN3c108BFloat16EfLi3ELi3ELi3ELi1ELi1ELi1EEEvN5torch10headeronly6detail27GenericPackedTensorAccessorINS7_14TensorAccessorINS3_8ArrayRefIlEEKT_Lm4ENS6_16DefaultPtrTraitsEiEENS_6detail16IndexBoundsCheckILm5EiEESD_Lm5ESE_iEENS8_INS9_ISB_SC_Lm4ESE_iEESI_SC_Lm5ESE_iEESJ_PSD_iiiiiiiii,comdat
.Lfunc_end9:
	.size	_ZN2at6native12_GLOBAL__N_128conv_depthwise3d_cuda_kernelIN3c108BFloat16EfLi3ELi3ELi3ELi1ELi1ELi1EEEvN5torch10headeronly6detail27GenericPackedTensorAccessorINS7_14TensorAccessorINS3_8ArrayRefIlEEKT_Lm4ENS6_16DefaultPtrTraitsEiEENS_6detail16IndexBoundsCheckILm5EiEESD_Lm5ESE_iEENS8_INS9_ISB_SC_Lm4ESE_iEESI_SC_Lm5ESE_iEESJ_PSD_iiiiiiiii, .Lfunc_end9-_ZN2at6native12_GLOBAL__N_128conv_depthwise3d_cuda_kernelIN3c108BFloat16EfLi3ELi3ELi3ELi1ELi1ELi1EEEvN5torch10headeronly6detail27GenericPackedTensorAccessorINS7_14TensorAccessorINS3_8ArrayRefIlEEKT_Lm4ENS6_16DefaultPtrTraitsEiEENS_6detail16IndexBoundsCheckILm5EiEESD_Lm5ESE_iEENS8_INS9_ISB_SC_Lm4ESE_iEESI_SC_Lm5ESE_iEESJ_PSD_iiiiiiiii
                                        ; -- End function
	.section	.AMDGPU.csdata,"",@progbits
; Kernel info:
; codeLenInByte = 3660
; NumSgprs: 94
; NumVgprs: 26
; NumAgprs: 0
; TotalNumVgprs: 26
; ScratchSize: 0
; MemoryBound: 0
; FloatMode: 240
; IeeeMode: 1
; LDSByteSize: 0 bytes/workgroup (compile time only)
; SGPRBlocks: 11
; VGPRBlocks: 3
; NumSGPRsForWavesPerEU: 94
; NumVGPRsForWavesPerEU: 26
; AccumOffset: 28
; Occupancy: 8
; WaveLimiterHint : 0
; COMPUTE_PGM_RSRC2:SCRATCH_EN: 0
; COMPUTE_PGM_RSRC2:USER_SGPR: 6
; COMPUTE_PGM_RSRC2:TRAP_HANDLER: 0
; COMPUTE_PGM_RSRC2:TGID_X_EN: 1
; COMPUTE_PGM_RSRC2:TGID_Y_EN: 0
; COMPUTE_PGM_RSRC2:TGID_Z_EN: 0
; COMPUTE_PGM_RSRC2:TIDIG_COMP_CNT: 0
; COMPUTE_PGM_RSRC3_GFX90A:ACCUM_OFFSET: 6
; COMPUTE_PGM_RSRC3_GFX90A:TG_SPLIT: 0
	.section	.text._ZN2at6native12_GLOBAL__N_128conv_depthwise3d_cuda_kernelIN3c108BFloat16EfLin1ELin1ELin1ELi1ELi1ELi1EEEvN5torch10headeronly6detail27GenericPackedTensorAccessorINS7_14TensorAccessorINS3_8ArrayRefIlEEKT_Lm4ENS6_16DefaultPtrTraitsEiEENS_6detail16IndexBoundsCheckILm5EiEESD_Lm5ESE_iEENS8_INS9_ISB_SC_Lm4ESE_iEESI_SC_Lm5ESE_iEESJ_PSD_iiiiiiiii,"axG",@progbits,_ZN2at6native12_GLOBAL__N_128conv_depthwise3d_cuda_kernelIN3c108BFloat16EfLin1ELin1ELin1ELi1ELi1ELi1EEEvN5torch10headeronly6detail27GenericPackedTensorAccessorINS7_14TensorAccessorINS3_8ArrayRefIlEEKT_Lm4ENS6_16DefaultPtrTraitsEiEENS_6detail16IndexBoundsCheckILm5EiEESD_Lm5ESE_iEENS8_INS9_ISB_SC_Lm4ESE_iEESI_SC_Lm5ESE_iEESJ_PSD_iiiiiiiii,comdat
	.globl	_ZN2at6native12_GLOBAL__N_128conv_depthwise3d_cuda_kernelIN3c108BFloat16EfLin1ELin1ELin1ELi1ELi1ELi1EEEvN5torch10headeronly6detail27GenericPackedTensorAccessorINS7_14TensorAccessorINS3_8ArrayRefIlEEKT_Lm4ENS6_16DefaultPtrTraitsEiEENS_6detail16IndexBoundsCheckILm5EiEESD_Lm5ESE_iEENS8_INS9_ISB_SC_Lm4ESE_iEESI_SC_Lm5ESE_iEESJ_PSD_iiiiiiiii ; -- Begin function _ZN2at6native12_GLOBAL__N_128conv_depthwise3d_cuda_kernelIN3c108BFloat16EfLin1ELin1ELin1ELi1ELi1ELi1EEEvN5torch10headeronly6detail27GenericPackedTensorAccessorINS7_14TensorAccessorINS3_8ArrayRefIlEEKT_Lm4ENS6_16DefaultPtrTraitsEiEENS_6detail16IndexBoundsCheckILm5EiEESD_Lm5ESE_iEENS8_INS9_ISB_SC_Lm4ESE_iEESI_SC_Lm5ESE_iEESJ_PSD_iiiiiiiii
	.p2align	8
	.type	_ZN2at6native12_GLOBAL__N_128conv_depthwise3d_cuda_kernelIN3c108BFloat16EfLin1ELin1ELin1ELi1ELi1ELi1EEEvN5torch10headeronly6detail27GenericPackedTensorAccessorINS7_14TensorAccessorINS3_8ArrayRefIlEEKT_Lm4ENS6_16DefaultPtrTraitsEiEENS_6detail16IndexBoundsCheckILm5EiEESD_Lm5ESE_iEENS8_INS9_ISB_SC_Lm4ESE_iEESI_SC_Lm5ESE_iEESJ_PSD_iiiiiiiii,@function
_ZN2at6native12_GLOBAL__N_128conv_depthwise3d_cuda_kernelIN3c108BFloat16EfLin1ELin1ELin1ELi1ELi1ELi1EEEvN5torch10headeronly6detail27GenericPackedTensorAccessorINS7_14TensorAccessorINS3_8ArrayRefIlEEKT_Lm4ENS6_16DefaultPtrTraitsEiEENS_6detail16IndexBoundsCheckILm5EiEESD_Lm5ESE_iEENS8_INS9_ISB_SC_Lm4ESE_iEESI_SC_Lm5ESE_iEESJ_PSD_iiiiiiiii: ; @_ZN2at6native12_GLOBAL__N_128conv_depthwise3d_cuda_kernelIN3c108BFloat16EfLin1ELin1ELin1ELi1ELi1ELi1EEEvN5torch10headeronly6detail27GenericPackedTensorAccessorINS7_14TensorAccessorINS3_8ArrayRefIlEEKT_Lm4ENS6_16DefaultPtrTraitsEiEENS_6detail16IndexBoundsCheckILm5EiEESD_Lm5ESE_iEENS8_INS9_ISB_SC_Lm4ESE_iEESI_SC_Lm5ESE_iEESJ_PSD_iiiiiiiii
; %bb.0:
	s_load_dwordx4 s[8:11], s[4:5], 0xc
	s_load_dwordx4 s[12:15], s[4:5], 0x38
	s_load_dwordx2 s[34:35], s[4:5], 0x48
	s_load_dword s2, s[4:5], 0xcc
	v_mov_b32_e32 v1, 0
	s_waitcnt lgkmcnt(0)
	s_abs_i32 s3, s8
	v_cvt_f32_u32_e32 v2, s3
	s_add_u32 s0, s4, 0xc0
	v_mov_b32_e32 v3, s6
	s_mul_i32 s6, s35, s12
	v_rcp_iflag_f32_e32 v2, v2
	s_addc_u32 s1, s5, 0
	s_and_b32 s2, s2, 0xffff
	v_mad_u64_u32 v[0:1], s[16:17], s2, v3, v[0:1]
	v_mul_f32_e32 v2, 0x4f7ffffe, v2
	v_cvt_u32_f32_e32 v2, v2
	s_ashr_i32 s7, s6, 31
	v_cmp_gt_i64_e32 vcc, s[6:7], v[0:1]
	v_readfirstlane_b32 s16, v2
	s_and_saveexec_b64 s[18:19], vcc
	s_cbranch_execz .LBB10_17
; %bb.1:
	s_sub_i32 s17, 0, s3
	s_mul_i32 s17, s17, s16
	s_mul_hi_u32 s17, s16, s17
	s_ashr_i32 s20, s8, 31
	s_abs_i32 s8, s13
	s_add_i32 s16, s16, s17
	s_mul_hi_u32 s21, s8, s16
	s_mul_i32 s22, s21, s3
	s_ashr_i32 s12, s13, 31
	s_sub_i32 s22, s8, s22
	s_xor_b32 s20, s12, s20
	s_add_i32 s23, s21, 1
	s_sub_i32 s24, s22, s3
	s_cmp_ge_u32 s22, s3
	s_cselect_b32 s21, s23, s21
	s_cselect_b32 s22, s24, s22
	s_add_i32 s23, s21, 1
	s_cmp_ge_u32 s22, s3
	s_cselect_b32 s3, s23, s21
	s_xor_b32 s3, s3, s20
	s_load_dwordx2 s[36:37], s[4:5], 0x90
	s_load_dwordx4 s[16:19], s[4:5], 0x98
	s_load_dwordx2 s[38:39], s[4:5], 0xa8
	s_sub_i32 s3, s3, s20
	s_load_dwordx4 s[20:23], s[4:5], 0x70
	s_load_dword s56, s[0:1], 0x0
                                        ; kill: killed $sgpr0 killed $sgpr1
	s_waitcnt lgkmcnt(0)
	s_load_dword s23, s[4:5], 0x7c
	s_load_dwordx2 s[40:41], s[4:5], 0x0
	s_load_dwordx4 s[24:27], s[4:5], 0x1c
	s_load_dword s63, s[4:5], 0x2c
	s_load_dwordx2 s[50:51], s[4:5], 0x30
	s_mov_b32 s33, 0
	s_cmp_gt_i32 s20, 0
	s_cselect_b64 s[42:43], -1, 0
	s_cmp_gt_i32 s21, 0
	s_cselect_b64 s[44:45], -1, 0
	;; [unrolled: 2-line block ×3, first 2 shown]
	s_sub_i32 s28, s10, s21
	s_sub_i32 s0, s11, s22
	s_mul_i32 s58, s11, s28
	s_ashr_i32 s1, s0, 31
	s_ashr_i32 s59, s58, 31
	s_cmp_lg_u64 s[36:37], 0
	s_cselect_b64 s[48:49], -1, 0
	s_abs_i32 s62, s34
	v_cvt_f32_u32_e32 v2, s62
	s_abs_i32 s65, s15
	v_cvt_f32_u32_e32 v3, s65
	s_mul_i32 s64, s56, s2
	v_rcp_iflag_f32_e32 v2, v2
	s_sub_i32 s2, 0, s62
	v_rcp_iflag_f32_e32 v3, v3
	s_abs_i32 s67, s14
	v_mul_f32_e32 v2, 0x4f7ffffe, v2
	v_cvt_u32_f32_e32 v2, v2
	s_abs_i32 s70, s3
	v_cvt_f32_u32_e32 v5, s70
	s_load_dwordx2 s[54:55], s[4:5], 0x60
	s_load_dwordx4 s[28:31], s[4:5], 0x50
	v_mul_lo_u32 v4, s2, v2
	v_mul_hi_u32 v4, v2, v4
	v_add_u32_e32 v8, v2, v4
	v_mul_f32_e32 v2, 0x4f7ffffe, v3
	v_cvt_f32_u32_e32 v3, s67
	v_cvt_u32_f32_e32 v2, v2
	s_sub_i32 s2, 0, s65
	s_mov_b64 s[52:53], 0
	v_rcp_iflag_f32_e32 v3, v3
	v_mul_lo_u32 v4, s2, v2
	v_mul_hi_u32 v4, v2, v4
	v_add_u32_e32 v9, v2, v4
	v_mul_f32_e32 v2, 0x4f7ffffe, v3
	v_cvt_u32_f32_e32 v2, v2
	v_cvt_f32_u32_e32 v3, s8
	s_sub_i32 s2, 0, s67
	s_ashr_i32 s66, s34, 31
	v_mul_lo_u32 v4, s2, v2
	v_rcp_iflag_f32_e32 v3, v3
	v_mul_hi_u32 v4, v2, v4
	v_add_u32_e32 v10, v2, v4
	v_rcp_iflag_f32_e32 v2, v5
	v_mul_f32_e32 v3, 0x4f7ffffe, v3
	v_cvt_u32_f32_e32 v3, v3
	s_sub_i32 s2, 0, s8
	v_mul_f32_e32 v2, 0x4f7ffffe, v2
	v_cvt_u32_f32_e32 v2, v2
	v_mul_lo_u32 v4, s2, v3
	v_mul_hi_u32 v4, v3, v4
	s_sub_i32 s2, 0, s70
	v_add_u32_e32 v11, v3, v4
	v_mul_lo_u32 v3, s2, v2
	v_mul_hi_u32 v3, v2, v3
	s_ashr_i32 s68, s15, 31
	s_ashr_i32 s69, s14, 31
	;; [unrolled: 1-line block ×3, first 2 shown]
	v_add_u32_e32 v12, v2, v3
	s_lshl_b64 s[56:57], s[0:1], 1
	s_lshl_b64 s[58:59], s[58:59], 1
	s_movk_i32 s72, 0x7fff
	v_mov_b32_e32 v13, 0x7fc0
	s_branch .LBB10_3
.LBB10_2:                               ;   in Loop: Header=BB10_3 Depth=1
	v_bfe_u32 v3, v21, 16, 1
	v_mul_lo_u32 v4, v17, s35
	v_add3_u32 v3, v21, v3, s72
	v_ashrrev_i32_e32 v5, 31, v4
	v_lshrrev_b32_e32 v3, 16, v3
	v_cmp_o_f32_e32 vcc, v21, v21
	v_lshlrev_b64 v[4:5], 1, v[4:5]
	v_cndmask_b32_e32 v6, v13, v3, vcc
	s_waitcnt lgkmcnt(0)
	v_mov_b32_e32 v3, s51
	v_add_co_u32_e32 v4, vcc, s50, v4
	v_mul_lo_u32 v2, s28, v2
	v_addc_co_u32_e32 v5, vcc, v3, v5, vcc
	v_ashrrev_i32_e32 v3, 31, v2
	v_lshlrev_b64 v[2:3], 1, v[2:3]
	v_add_co_u32_e32 v4, vcc, v4, v2
	v_mul_lo_u32 v2, s29, v16
	v_addc_co_u32_e32 v5, vcc, v5, v3, vcc
	v_ashrrev_i32_e32 v3, 31, v2
	v_lshlrev_b64 v[2:3], 1, v[2:3]
	;; [unrolled: 5-line block ×4, first 2 shown]
	v_add_co_u32_e32 v2, vcc, v4, v2
	v_addc_co_u32_e32 v3, vcc, v5, v3, vcc
	v_mov_b32_e32 v4, s33
	v_add_co_u32_e32 v0, vcc, s64, v0
	v_addc_co_u32_e32 v1, vcc, v1, v4, vcc
	v_cmp_le_i64_e32 vcc, s[6:7], v[0:1]
	s_or_b64 s[52:53], vcc, s[52:53]
	global_store_short v[2:3], v6, off
	s_andn2_b64 exec, exec, s[52:53]
	s_cbranch_execz .LBB10_17
.LBB10_3:                               ; =>This Loop Header: Depth=1
                                        ;     Child Loop BB10_6 Depth 2
                                        ;       Child Loop BB10_9 Depth 3
                                        ;         Child Loop BB10_12 Depth 4
	v_sub_u32_e32 v3, 0, v0
	v_max_i32_e32 v3, v0, v3
	v_mul_hi_u32 v4, v3, v8
	v_mul_lo_u32 v5, v4, s62
	v_sub_u32_e32 v3, v3, v5
	v_add_u32_e32 v5, 1, v4
	v_cmp_le_u32_e32 vcc, s62, v3
	v_cndmask_b32_e32 v4, v4, v5, vcc
	v_subrev_u32_e32 v5, s62, v3
	v_cndmask_b32_e32 v3, v3, v5, vcc
	v_ashrrev_i32_e32 v2, 31, v0
	v_add_u32_e32 v5, 1, v4
	v_cmp_le_u32_e32 vcc, s62, v3
	v_xor_b32_e32 v2, s66, v2
	v_cndmask_b32_e32 v3, v4, v5, vcc
	v_xor_b32_e32 v3, v3, v2
	v_sub_u32_e32 v2, v3, v2
	v_sub_u32_e32 v4, 0, v2
	v_max_i32_e32 v4, v2, v4
	v_mul_hi_u32 v5, v4, v9
	v_mul_lo_u32 v6, v5, s65
	v_sub_u32_e32 v4, v4, v6
	v_add_u32_e32 v6, 1, v5
	v_cmp_le_u32_e32 vcc, s65, v4
	v_cndmask_b32_e32 v5, v5, v6, vcc
	v_subrev_u32_e32 v6, s65, v4
	v_mul_lo_u32 v3, v2, s34
	v_cndmask_b32_e32 v4, v4, v6, vcc
	v_sub_u32_e32 v14, v0, v3
	v_ashrrev_i32_e32 v3, 31, v2
	v_add_u32_e32 v6, 1, v5
	v_cmp_le_u32_e32 vcc, s65, v4
	v_xor_b32_e32 v3, s68, v3
	v_cndmask_b32_e32 v4, v5, v6, vcc
	v_xor_b32_e32 v4, v4, v3
	v_sub_u32_e32 v3, v4, v3
	v_mul_lo_u32 v4, v3, s15
	v_sub_u32_e32 v15, v2, v4
	v_sub_u32_e32 v4, 0, v3
	v_max_i32_e32 v4, v3, v4
	v_mul_hi_u32 v5, v4, v10
	v_mul_lo_u32 v6, v5, s67
	v_sub_u32_e32 v4, v4, v6
	v_add_u32_e32 v6, 1, v5
	v_cmp_le_u32_e32 vcc, s67, v4
	v_cndmask_b32_e32 v5, v5, v6, vcc
	v_subrev_u32_e32 v6, s67, v4
	v_cndmask_b32_e32 v4, v4, v6, vcc
	v_ashrrev_i32_e32 v2, 31, v3
	v_add_u32_e32 v6, 1, v5
	v_cmp_le_u32_e32 vcc, s67, v4
	v_xor_b32_e32 v2, s69, v2
	v_cndmask_b32_e32 v4, v5, v6, vcc
	v_xor_b32_e32 v4, v4, v2
	v_sub_u32_e32 v2, v4, v2
	v_mul_lo_u32 v4, v2, s14
	v_sub_u32_e32 v16, v3, v4
	v_sub_u32_e32 v4, 0, v2
	v_max_i32_e32 v4, v2, v4
	v_mul_hi_u32 v5, v4, v11
	v_mul_lo_u32 v6, v5, s8
	v_sub_u32_e32 v4, v4, v6
	v_add_u32_e32 v6, 1, v5
	v_cmp_le_u32_e32 vcc, s8, v4
	v_cndmask_b32_e32 v5, v5, v6, vcc
	v_subrev_u32_e32 v6, s8, v4
	v_cndmask_b32_e32 v4, v4, v6, vcc
	v_ashrrev_i32_e32 v3, 31, v2
	v_add_u32_e32 v6, 1, v5
	v_cmp_le_u32_e32 vcc, s8, v4
	v_xor_b32_e32 v3, s12, v3
	v_cndmask_b32_e32 v4, v5, v6, vcc
	v_xor_b32_e32 v4, v4, v3
	v_sub_u32_e32 v17, v4, v3
	v_mul_lo_u32 v3, v17, s13
	v_sub_u32_e32 v2, v2, v3
	s_andn2_b64 vcc, exec, s[42:43]
	v_ashrrev_i32_e32 v3, 31, v2
	s_cbranch_vccnz .LBB10_14
; %bb.4:                                ;   in Loop: Header=BB10_3 Depth=1
	v_mul_lo_u32 v4, v14, s18
	v_subrev_u32_e32 v18, s39, v4
	v_mul_lo_u32 v4, v15, s17
	v_subrev_u32_e32 v19, s38, v4
	;; [unrolled: 2-line block ×3, first 2 shown]
	s_waitcnt lgkmcnt(0)
	v_mul_lo_u32 v4, s24, v17
	v_ashrrev_i32_e32 v5, 31, v4
	v_lshlrev_b64 v[4:5], 1, v[4:5]
	v_mov_b32_e32 v6, s41
	v_add_co_u32_e32 v7, vcc, s40, v4
	v_addc_co_u32_e32 v6, vcc, v6, v5, vcc
	v_sub_u32_e32 v5, 0, v2
	v_max_i32_e32 v5, v2, v5
	v_mul_hi_u32 v21, v5, v12
	v_mul_lo_u32 v22, v21, s70
	v_sub_u32_e32 v5, v5, v22
	v_add_u32_e32 v22, 1, v21
	v_cmp_le_u32_e32 vcc, s70, v5
	v_cndmask_b32_e32 v21, v21, v22, vcc
	v_subrev_u32_e32 v22, s70, v5
	v_cndmask_b32_e32 v5, v5, v22, vcc
	v_add_u32_e32 v22, 1, v21
	v_cmp_le_u32_e32 vcc, s70, v5
	v_xor_b32_e32 v4, s71, v3
	v_cndmask_b32_e32 v5, v21, v22, vcc
	v_xor_b32_e32 v5, v5, v4
	v_sub_u32_e32 v4, v5, v4
	v_mul_lo_u32 v4, s25, v4
	v_ashrrev_i32_e32 v5, 31, v4
	v_lshlrev_b64 v[4:5], 1, v[4:5]
	v_add_co_u32_e32 v7, vcc, v7, v4
	v_mul_lo_u32 v4, s26, v20
	v_addc_co_u32_e32 v6, vcc, v6, v5, vcc
	v_ashrrev_i32_e32 v5, 31, v4
	v_lshlrev_b64 v[4:5], 1, v[4:5]
	v_add_co_u32_e32 v7, vcc, v7, v4
	v_mul_lo_u32 v4, s27, v19
	v_addc_co_u32_e32 v6, vcc, v6, v5, vcc
	;; [unrolled: 5-line block ×3, first 2 shown]
	v_ashrrev_i32_e32 v5, 31, v4
	v_lshlrev_b64 v[4:5], 1, v[4:5]
	v_add_co_u32_e32 v4, vcc, v7, v4
	v_addc_co_u32_e32 v5, vcc, v6, v5, vcc
	v_mul_lo_u32 v6, s23, v2
	v_ashrrev_i32_e32 v7, 31, v6
	v_lshlrev_b64 v[6:7], 1, v[6:7]
	v_mov_b32_e32 v21, s55
	v_add_co_u32_e32 v6, vcc, s54, v6
	s_mov_b32 s73, 0
	v_addc_co_u32_e32 v7, vcc, v21, v7, vcc
	v_mov_b32_e32 v21, 0
	s_branch .LBB10_6
.LBB10_5:                               ;   in Loop: Header=BB10_6 Depth=2
	v_mov_b32_e32 v22, s59
	s_add_i32 s73, s73, 1
	v_add_co_u32_e32 v4, vcc, s58, v4
	s_cmp_eq_u32 s73, s20
	v_addc_co_u32_e32 v5, vcc, v5, v22, vcc
	s_cbranch_scc1 .LBB10_15
.LBB10_6:                               ;   Parent Loop BB10_3 Depth=1
                                        ; =>  This Loop Header: Depth=2
                                        ;       Child Loop BB10_9 Depth 3
                                        ;         Child Loop BB10_12 Depth 4
	s_andn2_b64 vcc, exec, s[44:45]
	s_cbranch_vccnz .LBB10_5
; %bb.7:                                ;   in Loop: Header=BB10_6 Depth=2
	v_add_u32_e32 v22, s73, v20
	v_cmp_lt_i32_e64 s[0:1], -1, v22
	v_cmp_gt_i32_e64 s[2:3], s9, v22
	s_mov_b32 s74, 0
	s_branch .LBB10_9
.LBB10_8:                               ;   in Loop: Header=BB10_9 Depth=3
	v_mov_b32_e32 v22, s57
	s_add_i32 s74, s74, 1
	v_add_co_u32_e32 v4, vcc, s56, v4
	s_cmp_eq_u32 s74, s21
	v_addc_co_u32_e32 v5, vcc, v5, v22, vcc
	s_cbranch_scc1 .LBB10_5
.LBB10_9:                               ;   Parent Loop BB10_3 Depth=1
                                        ;     Parent Loop BB10_6 Depth=2
                                        ; =>    This Loop Header: Depth=3
                                        ;         Child Loop BB10_12 Depth 4
	s_andn2_b64 vcc, exec, s[46:47]
	s_cbranch_vccnz .LBB10_8
; %bb.10:                               ;   in Loop: Header=BB10_9 Depth=3
	v_add_u32_e32 v22, s74, v19
	v_cmp_lt_i32_e32 vcc, -1, v22
	s_and_b64 s[60:61], s[0:1], vcc
	v_cmp_gt_i32_e32 vcc, s10, v22
	v_mov_b32_e32 v22, v18
	s_mov_b32 s75, s22
	s_branch .LBB10_12
.LBB10_11:                              ;   in Loop: Header=BB10_12 Depth=4
	s_or_b64 exec, exec, s[4:5]
	v_add_co_u32_e64 v6, s[4:5], 2, v6
	v_addc_co_u32_e64 v7, s[4:5], 0, v7, s[4:5]
	v_add_co_u32_e64 v4, s[4:5], 2, v4
	s_add_i32 s75, s75, -1
	v_addc_co_u32_e64 v5, s[4:5], 0, v5, s[4:5]
	s_cmp_eq_u32 s75, 0
	v_add_u32_e32 v22, 1, v22
	s_cbranch_scc1 .LBB10_8
.LBB10_12:                              ;   Parent Loop BB10_3 Depth=1
                                        ;     Parent Loop BB10_6 Depth=2
                                        ;       Parent Loop BB10_9 Depth=3
                                        ; =>      This Inner Loop Header: Depth=4
	v_cmp_lt_i32_e64 s[4:5], -1, v22
	s_and_b64 s[4:5], s[60:61], s[4:5]
	s_and_b64 s[4:5], s[4:5], s[2:3]
	s_and_b64 s[76:77], s[4:5], vcc
	v_cmp_gt_i32_e64 s[4:5], s11, v22
	s_and_b64 s[76:77], s[76:77], s[4:5]
	s_and_saveexec_b64 s[4:5], s[76:77]
	s_cbranch_execz .LBB10_11
; %bb.13:                               ;   in Loop: Header=BB10_12 Depth=4
	global_load_ushort v23, v[6:7], off
	global_load_ushort v24, v[4:5], off
	s_waitcnt vmcnt(1)
	v_lshlrev_b32_e32 v23, 16, v23
	s_waitcnt vmcnt(0)
	v_lshlrev_b32_e32 v24, 16, v24
	v_fmac_f32_e32 v21, v24, v23
	s_branch .LBB10_11
.LBB10_14:                              ;   in Loop: Header=BB10_3 Depth=1
	v_mov_b32_e32 v21, 0
.LBB10_15:                              ;   in Loop: Header=BB10_3 Depth=1
	s_and_b64 vcc, exec, s[48:49]
	s_cbranch_vccz .LBB10_2
; %bb.16:                               ;   in Loop: Header=BB10_3 Depth=1
	v_lshlrev_b64 v[4:5], 1, v[2:3]
	v_mov_b32_e32 v3, s37
	v_add_co_u32_e32 v4, vcc, s36, v4
	v_addc_co_u32_e32 v5, vcc, v3, v5, vcc
	global_load_ushort v3, v[4:5], off
	s_waitcnt vmcnt(0)
	v_lshlrev_b32_e32 v3, 16, v3
	v_add_f32_e32 v21, v21, v3
	s_branch .LBB10_2
.LBB10_17:
	s_endpgm
	.section	.rodata,"a",@progbits
	.p2align	6, 0x0
	.amdhsa_kernel _ZN2at6native12_GLOBAL__N_128conv_depthwise3d_cuda_kernelIN3c108BFloat16EfLin1ELin1ELin1ELi1ELi1ELi1EEEvN5torch10headeronly6detail27GenericPackedTensorAccessorINS7_14TensorAccessorINS3_8ArrayRefIlEEKT_Lm4ENS6_16DefaultPtrTraitsEiEENS_6detail16IndexBoundsCheckILm5EiEESD_Lm5ESE_iEENS8_INS9_ISB_SC_Lm4ESE_iEESI_SC_Lm5ESE_iEESJ_PSD_iiiiiiiii
		.amdhsa_group_segment_fixed_size 0
		.amdhsa_private_segment_fixed_size 0
		.amdhsa_kernarg_size 448
		.amdhsa_user_sgpr_count 6
		.amdhsa_user_sgpr_private_segment_buffer 1
		.amdhsa_user_sgpr_dispatch_ptr 0
		.amdhsa_user_sgpr_queue_ptr 0
		.amdhsa_user_sgpr_kernarg_segment_ptr 1
		.amdhsa_user_sgpr_dispatch_id 0
		.amdhsa_user_sgpr_flat_scratch_init 0
		.amdhsa_user_sgpr_kernarg_preload_length 0
		.amdhsa_user_sgpr_kernarg_preload_offset 0
		.amdhsa_user_sgpr_private_segment_size 0
		.amdhsa_uses_dynamic_stack 0
		.amdhsa_system_sgpr_private_segment_wavefront_offset 0
		.amdhsa_system_sgpr_workgroup_id_x 1
		.amdhsa_system_sgpr_workgroup_id_y 0
		.amdhsa_system_sgpr_workgroup_id_z 0
		.amdhsa_system_sgpr_workgroup_info 0
		.amdhsa_system_vgpr_workitem_id 0
		.amdhsa_next_free_vgpr 25
		.amdhsa_next_free_sgpr 78
		.amdhsa_accum_offset 28
		.amdhsa_reserve_vcc 1
		.amdhsa_reserve_flat_scratch 0
		.amdhsa_float_round_mode_32 0
		.amdhsa_float_round_mode_16_64 0
		.amdhsa_float_denorm_mode_32 3
		.amdhsa_float_denorm_mode_16_64 3
		.amdhsa_dx10_clamp 1
		.amdhsa_ieee_mode 1
		.amdhsa_fp16_overflow 0
		.amdhsa_tg_split 0
		.amdhsa_exception_fp_ieee_invalid_op 0
		.amdhsa_exception_fp_denorm_src 0
		.amdhsa_exception_fp_ieee_div_zero 0
		.amdhsa_exception_fp_ieee_overflow 0
		.amdhsa_exception_fp_ieee_underflow 0
		.amdhsa_exception_fp_ieee_inexact 0
		.amdhsa_exception_int_div_zero 0
	.end_amdhsa_kernel
	.section	.text._ZN2at6native12_GLOBAL__N_128conv_depthwise3d_cuda_kernelIN3c108BFloat16EfLin1ELin1ELin1ELi1ELi1ELi1EEEvN5torch10headeronly6detail27GenericPackedTensorAccessorINS7_14TensorAccessorINS3_8ArrayRefIlEEKT_Lm4ENS6_16DefaultPtrTraitsEiEENS_6detail16IndexBoundsCheckILm5EiEESD_Lm5ESE_iEENS8_INS9_ISB_SC_Lm4ESE_iEESI_SC_Lm5ESE_iEESJ_PSD_iiiiiiiii,"axG",@progbits,_ZN2at6native12_GLOBAL__N_128conv_depthwise3d_cuda_kernelIN3c108BFloat16EfLin1ELin1ELin1ELi1ELi1ELi1EEEvN5torch10headeronly6detail27GenericPackedTensorAccessorINS7_14TensorAccessorINS3_8ArrayRefIlEEKT_Lm4ENS6_16DefaultPtrTraitsEiEENS_6detail16IndexBoundsCheckILm5EiEESD_Lm5ESE_iEENS8_INS9_ISB_SC_Lm4ESE_iEESI_SC_Lm5ESE_iEESJ_PSD_iiiiiiiii,comdat
.Lfunc_end10:
	.size	_ZN2at6native12_GLOBAL__N_128conv_depthwise3d_cuda_kernelIN3c108BFloat16EfLin1ELin1ELin1ELi1ELi1ELi1EEEvN5torch10headeronly6detail27GenericPackedTensorAccessorINS7_14TensorAccessorINS3_8ArrayRefIlEEKT_Lm4ENS6_16DefaultPtrTraitsEiEENS_6detail16IndexBoundsCheckILm5EiEESD_Lm5ESE_iEENS8_INS9_ISB_SC_Lm4ESE_iEESI_SC_Lm5ESE_iEESJ_PSD_iiiiiiiii, .Lfunc_end10-_ZN2at6native12_GLOBAL__N_128conv_depthwise3d_cuda_kernelIN3c108BFloat16EfLin1ELin1ELin1ELi1ELi1ELi1EEEvN5torch10headeronly6detail27GenericPackedTensorAccessorINS7_14TensorAccessorINS3_8ArrayRefIlEEKT_Lm4ENS6_16DefaultPtrTraitsEiEENS_6detail16IndexBoundsCheckILm5EiEESD_Lm5ESE_iEENS8_INS9_ISB_SC_Lm4ESE_iEESI_SC_Lm5ESE_iEESJ_PSD_iiiiiiiii
                                        ; -- End function
	.section	.AMDGPU.csdata,"",@progbits
; Kernel info:
; codeLenInByte = 1832
; NumSgprs: 82
; NumVgprs: 25
; NumAgprs: 0
; TotalNumVgprs: 25
; ScratchSize: 0
; MemoryBound: 0
; FloatMode: 240
; IeeeMode: 1
; LDSByteSize: 0 bytes/workgroup (compile time only)
; SGPRBlocks: 10
; VGPRBlocks: 3
; NumSGPRsForWavesPerEU: 82
; NumVGPRsForWavesPerEU: 25
; AccumOffset: 28
; Occupancy: 8
; WaveLimiterHint : 0
; COMPUTE_PGM_RSRC2:SCRATCH_EN: 0
; COMPUTE_PGM_RSRC2:USER_SGPR: 6
; COMPUTE_PGM_RSRC2:TRAP_HANDLER: 0
; COMPUTE_PGM_RSRC2:TGID_X_EN: 1
; COMPUTE_PGM_RSRC2:TGID_Y_EN: 0
; COMPUTE_PGM_RSRC2:TGID_Z_EN: 0
; COMPUTE_PGM_RSRC2:TIDIG_COMP_CNT: 0
; COMPUTE_PGM_RSRC3_GFX90A:ACCUM_OFFSET: 6
; COMPUTE_PGM_RSRC3_GFX90A:TG_SPLIT: 0
	.section	.text._ZN2at6native12_GLOBAL__N_128conv_depthwise3d_cuda_kernelIN3c108BFloat16EfLin1ELin1ELin1ELin1ELin1ELin1EEEvN5torch10headeronly6detail27GenericPackedTensorAccessorINS7_14TensorAccessorINS3_8ArrayRefIlEEKT_Lm4ENS6_16DefaultPtrTraitsEiEENS_6detail16IndexBoundsCheckILm5EiEESD_Lm5ESE_iEENS8_INS9_ISB_SC_Lm4ESE_iEESI_SC_Lm5ESE_iEESJ_PSD_iiiiiiiii,"axG",@progbits,_ZN2at6native12_GLOBAL__N_128conv_depthwise3d_cuda_kernelIN3c108BFloat16EfLin1ELin1ELin1ELin1ELin1ELin1EEEvN5torch10headeronly6detail27GenericPackedTensorAccessorINS7_14TensorAccessorINS3_8ArrayRefIlEEKT_Lm4ENS6_16DefaultPtrTraitsEiEENS_6detail16IndexBoundsCheckILm5EiEESD_Lm5ESE_iEENS8_INS9_ISB_SC_Lm4ESE_iEESI_SC_Lm5ESE_iEESJ_PSD_iiiiiiiii,comdat
	.globl	_ZN2at6native12_GLOBAL__N_128conv_depthwise3d_cuda_kernelIN3c108BFloat16EfLin1ELin1ELin1ELin1ELin1ELin1EEEvN5torch10headeronly6detail27GenericPackedTensorAccessorINS7_14TensorAccessorINS3_8ArrayRefIlEEKT_Lm4ENS6_16DefaultPtrTraitsEiEENS_6detail16IndexBoundsCheckILm5EiEESD_Lm5ESE_iEENS8_INS9_ISB_SC_Lm4ESE_iEESI_SC_Lm5ESE_iEESJ_PSD_iiiiiiiii ; -- Begin function _ZN2at6native12_GLOBAL__N_128conv_depthwise3d_cuda_kernelIN3c108BFloat16EfLin1ELin1ELin1ELin1ELin1ELin1EEEvN5torch10headeronly6detail27GenericPackedTensorAccessorINS7_14TensorAccessorINS3_8ArrayRefIlEEKT_Lm4ENS6_16DefaultPtrTraitsEiEENS_6detail16IndexBoundsCheckILm5EiEESD_Lm5ESE_iEENS8_INS9_ISB_SC_Lm4ESE_iEESI_SC_Lm5ESE_iEESJ_PSD_iiiiiiiii
	.p2align	8
	.type	_ZN2at6native12_GLOBAL__N_128conv_depthwise3d_cuda_kernelIN3c108BFloat16EfLin1ELin1ELin1ELin1ELin1ELin1EEEvN5torch10headeronly6detail27GenericPackedTensorAccessorINS7_14TensorAccessorINS3_8ArrayRefIlEEKT_Lm4ENS6_16DefaultPtrTraitsEiEENS_6detail16IndexBoundsCheckILm5EiEESD_Lm5ESE_iEENS8_INS9_ISB_SC_Lm4ESE_iEESI_SC_Lm5ESE_iEESJ_PSD_iiiiiiiii,@function
_ZN2at6native12_GLOBAL__N_128conv_depthwise3d_cuda_kernelIN3c108BFloat16EfLin1ELin1ELin1ELin1ELin1ELin1EEEvN5torch10headeronly6detail27GenericPackedTensorAccessorINS7_14TensorAccessorINS3_8ArrayRefIlEEKT_Lm4ENS6_16DefaultPtrTraitsEiEENS_6detail16IndexBoundsCheckILm5EiEESD_Lm5ESE_iEENS8_INS9_ISB_SC_Lm4ESE_iEESI_SC_Lm5ESE_iEESJ_PSD_iiiiiiiii: ; @_ZN2at6native12_GLOBAL__N_128conv_depthwise3d_cuda_kernelIN3c108BFloat16EfLin1ELin1ELin1ELin1ELin1ELin1EEEvN5torch10headeronly6detail27GenericPackedTensorAccessorINS7_14TensorAccessorINS3_8ArrayRefIlEEKT_Lm4ENS6_16DefaultPtrTraitsEiEENS_6detail16IndexBoundsCheckILm5EiEESD_Lm5ESE_iEENS8_INS9_ISB_SC_Lm4ESE_iEESI_SC_Lm5ESE_iEESJ_PSD_iiiiiiiii
; %bb.0:
	s_load_dwordx4 s[16:19], s[4:5], 0xc
	s_load_dwordx4 s[20:23], s[4:5], 0x38
	s_load_dwordx2 s[34:35], s[4:5], 0x48
	s_load_dword s2, s[4:5], 0xcc
	v_mov_b32_e32 v1, 0
	s_waitcnt lgkmcnt(0)
	s_abs_i32 s3, s16
	v_cvt_f32_u32_e32 v2, s3
	s_add_u32 s0, s4, 0xc0
	v_mov_b32_e32 v3, s6
	s_mul_i32 s6, s35, s20
	v_rcp_iflag_f32_e32 v2, v2
	s_addc_u32 s1, s5, 0
	s_and_b32 s2, s2, 0xffff
	v_mad_u64_u32 v[0:1], s[8:9], s2, v3, v[0:1]
	v_mul_f32_e32 v2, 0x4f7ffffe, v2
	v_cvt_u32_f32_e32 v2, v2
	s_ashr_i32 s7, s6, 31
	v_cmp_gt_i64_e32 vcc, s[6:7], v[0:1]
	v_readfirstlane_b32 s8, v2
	s_and_saveexec_b64 s[10:11], vcc
	s_cbranch_execz .LBB11_17
; %bb.1:
	s_sub_i32 s9, 0, s3
	s_mul_i32 s9, s9, s8
	s_mul_hi_u32 s9, s8, s9
	s_ashr_i32 s24, s16, 31
	s_abs_i32 s16, s21
	s_add_i32 s8, s8, s9
	s_mul_hi_u32 s25, s16, s8
	s_mul_i32 s26, s25, s3
	s_ashr_i32 s20, s21, 31
	s_sub_i32 s26, s16, s26
	s_xor_b32 s24, s20, s24
	s_add_i32 s27, s25, 1
	s_sub_i32 s28, s26, s3
	s_cmp_ge_u32 s26, s3
	s_cselect_b32 s25, s27, s25
	s_cselect_b32 s26, s28, s26
	s_add_i32 s27, s25, 1
	s_cmp_ge_u32 s26, s3
	s_cselect_b32 s3, s27, s25
	s_xor_b32 s3, s3, s24
	s_load_dwordx2 s[40:41], s[4:5], 0x90
	s_load_dwordx8 s[8:15], s[4:5], 0x98
	s_load_dword s42, s[4:5], 0xb8
	s_sub_i32 s3, s3, s24
	s_load_dwordx4 s[24:27], s[4:5], 0x70
	s_load_dword s60, s[0:1], 0x0
                                        ; kill: killed $sgpr0 killed $sgpr1
	s_waitcnt lgkmcnt(0)
	s_load_dword s27, s[4:5], 0x7c
	s_load_dwordx2 s[44:45], s[4:5], 0x0
	s_load_dwordx4 s[28:31], s[4:5], 0x1c
	s_mul_i32 s36, s18, s14
	s_mul_i32 s0, s19, s15
	s_cmp_gt_i32 s24, 0
	s_cselect_b64 s[46:47], -1, 0
	s_cmp_gt_i32 s25, 0
	s_cselect_b64 s[48:49], -1, 0
	s_cmp_gt_i32 s26, 0
	s_mul_i32 s37, s25, s15
	s_cselect_b64 s[50:51], -1, 0
	s_mul_i32 s1, s26, s42
	s_sub_i32 s36, s36, s37
	s_sub_i32 s0, s0, s1
	s_mul_i32 s64, s36, s19
	s_ashr_i32 s43, s42, 31
	s_ashr_i32 s1, s0, 31
	;; [unrolled: 1-line block ×3, first 2 shown]
	s_cmp_lg_u64 s[40:41], 0
	s_cselect_b64 s[52:53], -1, 0
	s_abs_i32 s68, s34
	v_cvt_f32_u32_e32 v2, s68
	s_abs_i32 s71, s23
	v_cvt_f32_u32_e32 v3, s71
	s_mul_i32 s70, s60, s2
	v_rcp_iflag_f32_e32 v2, v2
	s_sub_i32 s2, 0, s68
	v_rcp_iflag_f32_e32 v3, v3
	s_abs_i32 s73, s22
	v_mul_f32_e32 v2, 0x4f7ffffe, v2
	v_cvt_u32_f32_e32 v2, v2
	s_abs_i32 s76, s3
	v_cvt_f32_u32_e32 v5, s76
	s_load_dword s69, s[4:5], 0x2c
	s_load_dwordx2 s[54:55], s[4:5], 0x30
	v_mul_lo_u32 v4, s2, v2
	v_mul_hi_u32 v4, v2, v4
	v_add_u32_e32 v8, v2, v4
	v_mul_f32_e32 v2, 0x4f7ffffe, v3
	v_cvt_f32_u32_e32 v3, s73
	v_cvt_u32_f32_e32 v2, v2
	s_sub_i32 s2, 0, s71
	s_load_dwordx2 s[58:59], s[4:5], 0x60
	s_load_dwordx4 s[36:39], s[4:5], 0x50
	v_rcp_iflag_f32_e32 v3, v3
	v_mul_lo_u32 v4, s2, v2
	v_mul_hi_u32 v4, v2, v4
	v_add_u32_e32 v9, v2, v4
	v_mul_f32_e32 v2, 0x4f7ffffe, v3
	v_cvt_u32_f32_e32 v2, v2
	v_cvt_f32_u32_e32 v3, s16
	s_sub_i32 s2, 0, s73
	s_mov_b32 s33, 0
	v_mul_lo_u32 v4, s2, v2
	v_rcp_iflag_f32_e32 v3, v3
	v_mul_hi_u32 v4, v2, v4
	v_add_u32_e32 v10, v2, v4
	v_rcp_iflag_f32_e32 v2, v5
	v_mul_f32_e32 v3, 0x4f7ffffe, v3
	v_cvt_u32_f32_e32 v3, v3
	s_sub_i32 s2, 0, s16
	v_mul_f32_e32 v2, 0x4f7ffffe, v2
	v_cvt_u32_f32_e32 v2, v2
	v_mul_lo_u32 v4, s2, v3
	v_mul_hi_u32 v4, v3, v4
	s_sub_i32 s2, 0, s76
	v_add_u32_e32 v11, v3, v4
	v_mul_lo_u32 v3, s2, v2
	v_mul_hi_u32 v3, v2, v3
	s_mov_b64 s[56:57], 0
	s_ashr_i32 s72, s34, 31
	s_ashr_i32 s74, s23, 31
	;; [unrolled: 1-line block ×4, first 2 shown]
	v_add_u32_e32 v12, v2, v3
	s_lshl_b64 s[60:61], s[42:43], 1
	s_lshl_b64 s[62:63], s[0:1], 1
	;; [unrolled: 1-line block ×3, first 2 shown]
	s_movk_i32 s43, 0x7fff
	v_mov_b32_e32 v13, 0x7fc0
	s_branch .LBB11_3
.LBB11_2:                               ;   in Loop: Header=BB11_3 Depth=1
	v_bfe_u32 v3, v21, 16, 1
	v_mul_lo_u32 v4, v17, s35
	v_add3_u32 v3, v21, v3, s43
	v_ashrrev_i32_e32 v5, 31, v4
	v_lshrrev_b32_e32 v3, 16, v3
	v_cmp_o_f32_e32 vcc, v21, v21
	v_lshlrev_b64 v[4:5], 1, v[4:5]
	v_cndmask_b32_e32 v6, v13, v3, vcc
	s_waitcnt lgkmcnt(0)
	v_mov_b32_e32 v3, s55
	v_add_co_u32_e32 v4, vcc, s54, v4
	v_mul_lo_u32 v2, s36, v2
	v_addc_co_u32_e32 v5, vcc, v3, v5, vcc
	v_ashrrev_i32_e32 v3, 31, v2
	v_lshlrev_b64 v[2:3], 1, v[2:3]
	v_add_co_u32_e32 v4, vcc, v4, v2
	v_mul_lo_u32 v2, s37, v16
	v_addc_co_u32_e32 v5, vcc, v5, v3, vcc
	v_ashrrev_i32_e32 v3, 31, v2
	v_lshlrev_b64 v[2:3], 1, v[2:3]
	;; [unrolled: 5-line block ×4, first 2 shown]
	v_add_co_u32_e32 v2, vcc, v4, v2
	v_addc_co_u32_e32 v3, vcc, v5, v3, vcc
	v_mov_b32_e32 v4, s33
	v_add_co_u32_e32 v0, vcc, s70, v0
	v_addc_co_u32_e32 v1, vcc, v1, v4, vcc
	v_cmp_le_i64_e32 vcc, s[6:7], v[0:1]
	s_or_b64 s[56:57], vcc, s[56:57]
	global_store_short v[2:3], v6, off
	s_andn2_b64 exec, exec, s[56:57]
	s_cbranch_execz .LBB11_17
.LBB11_3:                               ; =>This Loop Header: Depth=1
                                        ;     Child Loop BB11_6 Depth 2
                                        ;       Child Loop BB11_9 Depth 3
                                        ;         Child Loop BB11_12 Depth 4
	v_sub_u32_e32 v3, 0, v0
	v_max_i32_e32 v3, v0, v3
	v_mul_hi_u32 v4, v3, v8
	v_mul_lo_u32 v5, v4, s68
	v_sub_u32_e32 v3, v3, v5
	v_add_u32_e32 v5, 1, v4
	v_cmp_le_u32_e32 vcc, s68, v3
	v_cndmask_b32_e32 v4, v4, v5, vcc
	v_subrev_u32_e32 v5, s68, v3
	v_cndmask_b32_e32 v3, v3, v5, vcc
	v_ashrrev_i32_e32 v2, 31, v0
	v_add_u32_e32 v5, 1, v4
	v_cmp_le_u32_e32 vcc, s68, v3
	v_xor_b32_e32 v2, s72, v2
	v_cndmask_b32_e32 v3, v4, v5, vcc
	v_xor_b32_e32 v3, v3, v2
	v_sub_u32_e32 v2, v3, v2
	v_sub_u32_e32 v4, 0, v2
	v_max_i32_e32 v4, v2, v4
	v_mul_hi_u32 v5, v4, v9
	v_mul_lo_u32 v6, v5, s71
	v_sub_u32_e32 v4, v4, v6
	v_add_u32_e32 v6, 1, v5
	v_cmp_le_u32_e32 vcc, s71, v4
	v_cndmask_b32_e32 v5, v5, v6, vcc
	v_subrev_u32_e32 v6, s71, v4
	v_mul_lo_u32 v3, v2, s34
	v_cndmask_b32_e32 v4, v4, v6, vcc
	v_sub_u32_e32 v14, v0, v3
	v_ashrrev_i32_e32 v3, 31, v2
	v_add_u32_e32 v6, 1, v5
	v_cmp_le_u32_e32 vcc, s71, v4
	v_xor_b32_e32 v3, s74, v3
	v_cndmask_b32_e32 v4, v5, v6, vcc
	v_xor_b32_e32 v4, v4, v3
	v_sub_u32_e32 v3, v4, v3
	v_mul_lo_u32 v4, v3, s23
	v_sub_u32_e32 v15, v2, v4
	v_sub_u32_e32 v4, 0, v3
	v_max_i32_e32 v4, v3, v4
	v_mul_hi_u32 v5, v4, v10
	v_mul_lo_u32 v6, v5, s73
	v_sub_u32_e32 v4, v4, v6
	v_add_u32_e32 v6, 1, v5
	v_cmp_le_u32_e32 vcc, s73, v4
	v_cndmask_b32_e32 v5, v5, v6, vcc
	v_subrev_u32_e32 v6, s73, v4
	v_cndmask_b32_e32 v4, v4, v6, vcc
	v_ashrrev_i32_e32 v2, 31, v3
	v_add_u32_e32 v6, 1, v5
	v_cmp_le_u32_e32 vcc, s73, v4
	v_xor_b32_e32 v2, s75, v2
	v_cndmask_b32_e32 v4, v5, v6, vcc
	v_xor_b32_e32 v4, v4, v2
	v_sub_u32_e32 v2, v4, v2
	v_mul_lo_u32 v4, v2, s22
	v_sub_u32_e32 v16, v3, v4
	v_sub_u32_e32 v4, 0, v2
	v_max_i32_e32 v4, v2, v4
	v_mul_hi_u32 v5, v4, v11
	v_mul_lo_u32 v6, v5, s16
	v_sub_u32_e32 v4, v4, v6
	v_add_u32_e32 v6, 1, v5
	v_cmp_le_u32_e32 vcc, s16, v4
	v_cndmask_b32_e32 v5, v5, v6, vcc
	v_subrev_u32_e32 v6, s16, v4
	v_cndmask_b32_e32 v4, v4, v6, vcc
	v_ashrrev_i32_e32 v3, 31, v2
	v_add_u32_e32 v6, 1, v5
	v_cmp_le_u32_e32 vcc, s16, v4
	v_xor_b32_e32 v3, s20, v3
	v_cndmask_b32_e32 v4, v5, v6, vcc
	v_xor_b32_e32 v4, v4, v3
	v_sub_u32_e32 v17, v4, v3
	v_mul_lo_u32 v3, v17, s21
	v_sub_u32_e32 v2, v2, v3
	s_andn2_b64 vcc, exec, s[46:47]
	v_ashrrev_i32_e32 v3, 31, v2
	s_cbranch_vccnz .LBB11_14
; %bb.4:                                ;   in Loop: Header=BB11_3 Depth=1
	v_mul_lo_u32 v4, v14, s10
	v_subrev_u32_e32 v18, s13, v4
	v_mul_lo_u32 v4, v15, s9
	v_subrev_u32_e32 v19, s12, v4
	;; [unrolled: 2-line block ×3, first 2 shown]
	s_waitcnt lgkmcnt(0)
	v_mul_lo_u32 v4, s28, v17
	v_ashrrev_i32_e32 v5, 31, v4
	v_lshlrev_b64 v[4:5], 1, v[4:5]
	v_mov_b32_e32 v6, s45
	v_add_co_u32_e32 v7, vcc, s44, v4
	v_addc_co_u32_e32 v6, vcc, v6, v5, vcc
	v_sub_u32_e32 v5, 0, v2
	v_max_i32_e32 v5, v2, v5
	v_mul_hi_u32 v21, v5, v12
	v_mul_lo_u32 v22, v21, s76
	v_sub_u32_e32 v5, v5, v22
	v_add_u32_e32 v22, 1, v21
	v_cmp_le_u32_e32 vcc, s76, v5
	v_cndmask_b32_e32 v21, v21, v22, vcc
	v_subrev_u32_e32 v22, s76, v5
	v_cndmask_b32_e32 v5, v5, v22, vcc
	v_add_u32_e32 v22, 1, v21
	v_cmp_le_u32_e32 vcc, s76, v5
	v_xor_b32_e32 v4, s77, v3
	v_cndmask_b32_e32 v5, v21, v22, vcc
	v_xor_b32_e32 v5, v5, v4
	v_sub_u32_e32 v4, v5, v4
	v_mul_lo_u32 v4, s29, v4
	v_ashrrev_i32_e32 v5, 31, v4
	v_lshlrev_b64 v[4:5], 1, v[4:5]
	v_add_co_u32_e32 v7, vcc, v7, v4
	v_mul_lo_u32 v4, s30, v20
	v_addc_co_u32_e32 v6, vcc, v6, v5, vcc
	v_ashrrev_i32_e32 v5, 31, v4
	v_lshlrev_b64 v[4:5], 1, v[4:5]
	v_add_co_u32_e32 v7, vcc, v7, v4
	v_mul_lo_u32 v4, s31, v19
	v_addc_co_u32_e32 v6, vcc, v6, v5, vcc
	;; [unrolled: 5-line block ×3, first 2 shown]
	v_ashrrev_i32_e32 v5, 31, v4
	v_lshlrev_b64 v[4:5], 1, v[4:5]
	v_add_co_u32_e32 v4, vcc, v7, v4
	v_addc_co_u32_e32 v5, vcc, v6, v5, vcc
	v_mul_lo_u32 v6, s27, v2
	v_ashrrev_i32_e32 v7, 31, v6
	v_lshlrev_b64 v[6:7], 1, v[6:7]
	v_mov_b32_e32 v21, s59
	v_add_co_u32_e32 v6, vcc, s58, v6
	s_mov_b32 s78, 0
	v_addc_co_u32_e32 v7, vcc, v21, v7, vcc
	v_mov_b32_e32 v21, 0
	s_branch .LBB11_6
.LBB11_5:                               ;   in Loop: Header=BB11_6 Depth=2
	v_mov_b32_e32 v22, s65
	s_add_i32 s78, s78, 1
	v_add_co_u32_e32 v4, vcc, s64, v4
	s_cmp_eq_u32 s78, s24
	v_addc_co_u32_e32 v5, vcc, v5, v22, vcc
	s_cbranch_scc1 .LBB11_15
.LBB11_6:                               ;   Parent Loop BB11_3 Depth=1
                                        ; =>  This Loop Header: Depth=2
                                        ;       Child Loop BB11_9 Depth 3
                                        ;         Child Loop BB11_12 Depth 4
	s_andn2_b64 vcc, exec, s[48:49]
	s_cbranch_vccnz .LBB11_5
; %bb.7:                                ;   in Loop: Header=BB11_6 Depth=2
	s_mul_i32 s0, s78, s14
	v_add_u32_e32 v22, s0, v20
	v_cmp_lt_i32_e64 s[0:1], -1, v22
	v_cmp_gt_i32_e64 s[2:3], s17, v22
	s_mov_b32 s79, 0
	s_branch .LBB11_9
.LBB11_8:                               ;   in Loop: Header=BB11_9 Depth=3
	v_mov_b32_e32 v22, s63
	s_add_i32 s79, s79, 1
	v_add_co_u32_e32 v4, vcc, s62, v4
	s_cmp_eq_u32 s79, s25
	v_addc_co_u32_e32 v5, vcc, v5, v22, vcc
	s_cbranch_scc1 .LBB11_5
.LBB11_9:                               ;   Parent Loop BB11_3 Depth=1
                                        ;     Parent Loop BB11_6 Depth=2
                                        ; =>    This Loop Header: Depth=3
                                        ;         Child Loop BB11_12 Depth 4
	s_andn2_b64 vcc, exec, s[50:51]
	s_cbranch_vccnz .LBB11_8
; %bb.10:                               ;   in Loop: Header=BB11_9 Depth=3
	s_mul_i32 s4, s79, s15
	v_add_u32_e32 v22, s4, v19
	v_cmp_lt_i32_e32 vcc, -1, v22
	s_and_b64 s[66:67], s[0:1], vcc
	v_cmp_gt_i32_e32 vcc, s18, v22
	v_mov_b32_e32 v22, v18
	s_mov_b32 s80, s26
	s_branch .LBB11_12
.LBB11_11:                              ;   in Loop: Header=BB11_12 Depth=4
	s_or_b64 exec, exec, s[4:5]
	v_add_co_u32_e64 v6, s[4:5], 2, v6
	v_addc_co_u32_e64 v7, s[4:5], 0, v7, s[4:5]
	s_add_i32 s80, s80, -1
	v_mov_b32_e32 v23, s61
	v_add_co_u32_e64 v4, s[4:5], s60, v4
	v_add_u32_e32 v22, s42, v22
	s_cmp_eq_u32 s80, 0
	v_addc_co_u32_e64 v5, s[4:5], v5, v23, s[4:5]
	s_cbranch_scc1 .LBB11_8
.LBB11_12:                              ;   Parent Loop BB11_3 Depth=1
                                        ;     Parent Loop BB11_6 Depth=2
                                        ;       Parent Loop BB11_9 Depth=3
                                        ; =>      This Inner Loop Header: Depth=4
	v_cmp_lt_i32_e64 s[4:5], -1, v22
	s_and_b64 s[4:5], s[66:67], s[4:5]
	s_and_b64 s[4:5], s[4:5], s[2:3]
	s_and_b64 s[82:83], s[4:5], vcc
	v_cmp_gt_i32_e64 s[4:5], s19, v22
	s_and_b64 s[82:83], s[82:83], s[4:5]
	s_and_saveexec_b64 s[4:5], s[82:83]
	s_cbranch_execz .LBB11_11
; %bb.13:                               ;   in Loop: Header=BB11_12 Depth=4
	global_load_ushort v23, v[6:7], off
	global_load_ushort v24, v[4:5], off
	s_waitcnt vmcnt(1)
	v_lshlrev_b32_e32 v23, 16, v23
	s_waitcnt vmcnt(0)
	v_lshlrev_b32_e32 v24, 16, v24
	v_fmac_f32_e32 v21, v24, v23
	s_branch .LBB11_11
.LBB11_14:                              ;   in Loop: Header=BB11_3 Depth=1
	v_mov_b32_e32 v21, 0
.LBB11_15:                              ;   in Loop: Header=BB11_3 Depth=1
	s_and_b64 vcc, exec, s[52:53]
	s_cbranch_vccz .LBB11_2
; %bb.16:                               ;   in Loop: Header=BB11_3 Depth=1
	v_lshlrev_b64 v[4:5], 1, v[2:3]
	v_mov_b32_e32 v3, s41
	v_add_co_u32_e32 v4, vcc, s40, v4
	v_addc_co_u32_e32 v5, vcc, v3, v5, vcc
	global_load_ushort v3, v[4:5], off
	s_waitcnt vmcnt(0)
	v_lshlrev_b32_e32 v3, 16, v3
	v_add_f32_e32 v21, v21, v3
	s_branch .LBB11_2
.LBB11_17:
	s_endpgm
	.section	.rodata,"a",@progbits
	.p2align	6, 0x0
	.amdhsa_kernel _ZN2at6native12_GLOBAL__N_128conv_depthwise3d_cuda_kernelIN3c108BFloat16EfLin1ELin1ELin1ELin1ELin1ELin1EEEvN5torch10headeronly6detail27GenericPackedTensorAccessorINS7_14TensorAccessorINS3_8ArrayRefIlEEKT_Lm4ENS6_16DefaultPtrTraitsEiEENS_6detail16IndexBoundsCheckILm5EiEESD_Lm5ESE_iEENS8_INS9_ISB_SC_Lm4ESE_iEESI_SC_Lm5ESE_iEESJ_PSD_iiiiiiiii
		.amdhsa_group_segment_fixed_size 0
		.amdhsa_private_segment_fixed_size 0
		.amdhsa_kernarg_size 448
		.amdhsa_user_sgpr_count 6
		.amdhsa_user_sgpr_private_segment_buffer 1
		.amdhsa_user_sgpr_dispatch_ptr 0
		.amdhsa_user_sgpr_queue_ptr 0
		.amdhsa_user_sgpr_kernarg_segment_ptr 1
		.amdhsa_user_sgpr_dispatch_id 0
		.amdhsa_user_sgpr_flat_scratch_init 0
		.amdhsa_user_sgpr_kernarg_preload_length 0
		.amdhsa_user_sgpr_kernarg_preload_offset 0
		.amdhsa_user_sgpr_private_segment_size 0
		.amdhsa_uses_dynamic_stack 0
		.amdhsa_system_sgpr_private_segment_wavefront_offset 0
		.amdhsa_system_sgpr_workgroup_id_x 1
		.amdhsa_system_sgpr_workgroup_id_y 0
		.amdhsa_system_sgpr_workgroup_id_z 0
		.amdhsa_system_sgpr_workgroup_info 0
		.amdhsa_system_vgpr_workitem_id 0
		.amdhsa_next_free_vgpr 25
		.amdhsa_next_free_sgpr 84
		.amdhsa_accum_offset 28
		.amdhsa_reserve_vcc 1
		.amdhsa_reserve_flat_scratch 0
		.amdhsa_float_round_mode_32 0
		.amdhsa_float_round_mode_16_64 0
		.amdhsa_float_denorm_mode_32 3
		.amdhsa_float_denorm_mode_16_64 3
		.amdhsa_dx10_clamp 1
		.amdhsa_ieee_mode 1
		.amdhsa_fp16_overflow 0
		.amdhsa_tg_split 0
		.amdhsa_exception_fp_ieee_invalid_op 0
		.amdhsa_exception_fp_denorm_src 0
		.amdhsa_exception_fp_ieee_div_zero 0
		.amdhsa_exception_fp_ieee_overflow 0
		.amdhsa_exception_fp_ieee_underflow 0
		.amdhsa_exception_fp_ieee_inexact 0
		.amdhsa_exception_int_div_zero 0
	.end_amdhsa_kernel
	.section	.text._ZN2at6native12_GLOBAL__N_128conv_depthwise3d_cuda_kernelIN3c108BFloat16EfLin1ELin1ELin1ELin1ELin1ELin1EEEvN5torch10headeronly6detail27GenericPackedTensorAccessorINS7_14TensorAccessorINS3_8ArrayRefIlEEKT_Lm4ENS6_16DefaultPtrTraitsEiEENS_6detail16IndexBoundsCheckILm5EiEESD_Lm5ESE_iEENS8_INS9_ISB_SC_Lm4ESE_iEESI_SC_Lm5ESE_iEESJ_PSD_iiiiiiiii,"axG",@progbits,_ZN2at6native12_GLOBAL__N_128conv_depthwise3d_cuda_kernelIN3c108BFloat16EfLin1ELin1ELin1ELin1ELin1ELin1EEEvN5torch10headeronly6detail27GenericPackedTensorAccessorINS7_14TensorAccessorINS3_8ArrayRefIlEEKT_Lm4ENS6_16DefaultPtrTraitsEiEENS_6detail16IndexBoundsCheckILm5EiEESD_Lm5ESE_iEENS8_INS9_ISB_SC_Lm4ESE_iEESI_SC_Lm5ESE_iEESJ_PSD_iiiiiiiii,comdat
.Lfunc_end11:
	.size	_ZN2at6native12_GLOBAL__N_128conv_depthwise3d_cuda_kernelIN3c108BFloat16EfLin1ELin1ELin1ELin1ELin1ELin1EEEvN5torch10headeronly6detail27GenericPackedTensorAccessorINS7_14TensorAccessorINS3_8ArrayRefIlEEKT_Lm4ENS6_16DefaultPtrTraitsEiEENS_6detail16IndexBoundsCheckILm5EiEESD_Lm5ESE_iEENS8_INS9_ISB_SC_Lm4ESE_iEESI_SC_Lm5ESE_iEESJ_PSD_iiiiiiiii, .Lfunc_end11-_ZN2at6native12_GLOBAL__N_128conv_depthwise3d_cuda_kernelIN3c108BFloat16EfLin1ELin1ELin1ELin1ELin1ELin1EEEvN5torch10headeronly6detail27GenericPackedTensorAccessorINS7_14TensorAccessorINS3_8ArrayRefIlEEKT_Lm4ENS6_16DefaultPtrTraitsEiEENS_6detail16IndexBoundsCheckILm5EiEESD_Lm5ESE_iEENS8_INS9_ISB_SC_Lm4ESE_iEESI_SC_Lm5ESE_iEESJ_PSD_iiiiiiiii
                                        ; -- End function
	.section	.AMDGPU.csdata,"",@progbits
; Kernel info:
; codeLenInByte = 1868
; NumSgprs: 88
; NumVgprs: 25
; NumAgprs: 0
; TotalNumVgprs: 25
; ScratchSize: 0
; MemoryBound: 0
; FloatMode: 240
; IeeeMode: 1
; LDSByteSize: 0 bytes/workgroup (compile time only)
; SGPRBlocks: 10
; VGPRBlocks: 3
; NumSGPRsForWavesPerEU: 88
; NumVGPRsForWavesPerEU: 25
; AccumOffset: 28
; Occupancy: 8
; WaveLimiterHint : 0
; COMPUTE_PGM_RSRC2:SCRATCH_EN: 0
; COMPUTE_PGM_RSRC2:USER_SGPR: 6
; COMPUTE_PGM_RSRC2:TRAP_HANDLER: 0
; COMPUTE_PGM_RSRC2:TGID_X_EN: 1
; COMPUTE_PGM_RSRC2:TGID_Y_EN: 0
; COMPUTE_PGM_RSRC2:TGID_Z_EN: 0
; COMPUTE_PGM_RSRC2:TIDIG_COMP_CNT: 0
; COMPUTE_PGM_RSRC3_GFX90A:ACCUM_OFFSET: 6
; COMPUTE_PGM_RSRC3_GFX90A:TG_SPLIT: 0
	.section	.text._ZN2at6native12_GLOBAL__N_143conv_depthwise3d_cuda_backward_input_kernelIddLi3ELi3ELi3ELi1ELi1ELi1ELi1ELi1ELi1EEEvN5torch10headeronly6detail27GenericPackedTensorAccessorINS5_14TensorAccessorIN3c108ArrayRefIlEEKT_Lm4ENS4_16DefaultPtrTraitsEiEENS_6detail16IndexBoundsCheckILm5EiEESC_Lm5ESD_iEENS6_INS7_ISA_SB_Lm4ESD_iEESH_SB_Lm5ESD_iEESI_iiiiiiiii,"axG",@progbits,_ZN2at6native12_GLOBAL__N_143conv_depthwise3d_cuda_backward_input_kernelIddLi3ELi3ELi3ELi1ELi1ELi1ELi1ELi1ELi1EEEvN5torch10headeronly6detail27GenericPackedTensorAccessorINS5_14TensorAccessorIN3c108ArrayRefIlEEKT_Lm4ENS4_16DefaultPtrTraitsEiEENS_6detail16IndexBoundsCheckILm5EiEESC_Lm5ESD_iEENS6_INS7_ISA_SB_Lm4ESD_iEESH_SB_Lm5ESD_iEESI_iiiiiiiii,comdat
	.globl	_ZN2at6native12_GLOBAL__N_143conv_depthwise3d_cuda_backward_input_kernelIddLi3ELi3ELi3ELi1ELi1ELi1ELi1ELi1ELi1EEEvN5torch10headeronly6detail27GenericPackedTensorAccessorINS5_14TensorAccessorIN3c108ArrayRefIlEEKT_Lm4ENS4_16DefaultPtrTraitsEiEENS_6detail16IndexBoundsCheckILm5EiEESC_Lm5ESD_iEENS6_INS7_ISA_SB_Lm4ESD_iEESH_SB_Lm5ESD_iEESI_iiiiiiiii ; -- Begin function _ZN2at6native12_GLOBAL__N_143conv_depthwise3d_cuda_backward_input_kernelIddLi3ELi3ELi3ELi1ELi1ELi1ELi1ELi1ELi1EEEvN5torch10headeronly6detail27GenericPackedTensorAccessorINS5_14TensorAccessorIN3c108ArrayRefIlEEKT_Lm4ENS4_16DefaultPtrTraitsEiEENS_6detail16IndexBoundsCheckILm5EiEESC_Lm5ESD_iEENS6_INS7_ISA_SB_Lm4ESD_iEESH_SB_Lm5ESD_iEESI_iiiiiiiii
	.p2align	8
	.type	_ZN2at6native12_GLOBAL__N_143conv_depthwise3d_cuda_backward_input_kernelIddLi3ELi3ELi3ELi1ELi1ELi1ELi1ELi1ELi1EEEvN5torch10headeronly6detail27GenericPackedTensorAccessorINS5_14TensorAccessorIN3c108ArrayRefIlEEKT_Lm4ENS4_16DefaultPtrTraitsEiEENS_6detail16IndexBoundsCheckILm5EiEESC_Lm5ESD_iEENS6_INS7_ISA_SB_Lm4ESD_iEESH_SB_Lm5ESD_iEESI_iiiiiiiii,@function
_ZN2at6native12_GLOBAL__N_143conv_depthwise3d_cuda_backward_input_kernelIddLi3ELi3ELi3ELi1ELi1ELi1ELi1ELi1ELi1EEEvN5torch10headeronly6detail27GenericPackedTensorAccessorINS5_14TensorAccessorIN3c108ArrayRefIlEEKT_Lm4ENS4_16DefaultPtrTraitsEiEENS_6detail16IndexBoundsCheckILm5EiEESC_Lm5ESD_iEENS6_INS7_ISA_SB_Lm4ESD_iEESH_SB_Lm5ESD_iEESI_iiiiiiiii: ; @_ZN2at6native12_GLOBAL__N_143conv_depthwise3d_cuda_backward_input_kernelIddLi3ELi3ELi3ELi1ELi1ELi1ELi1ELi1ELi1EEEvN5torch10headeronly6detail27GenericPackedTensorAccessorINS5_14TensorAccessorIN3c108ArrayRefIlEEKT_Lm4ENS4_16DefaultPtrTraitsEiEENS_6detail16IndexBoundsCheckILm5EiEESC_Lm5ESD_iEENS6_INS7_ISA_SB_Lm4ESD_iEESH_SB_Lm5ESD_iEESI_iiiiiiiii
; %bb.0:
	s_load_dwordx4 s[16:19], s[4:5], 0x38
	s_load_dwordx2 s[14:15], s[4:5], 0x48
	s_mov_b64 s[98:99], s[2:3]
	s_mov_b64 s[96:97], s[0:1]
	s_add_u32 s96, s96, s7
	s_addc_u32 s97, s97, 0
	s_waitcnt lgkmcnt(0)
	s_abs_i32 s33, s17
	v_cvt_f32_u32_e32 v2, s33
	s_load_dword s2, s[4:5], 0xc4
	s_add_u32 s0, s4, 0xb8
	v_mov_b32_e32 v1, 0
	v_rcp_iflag_f32_e32 v2, v2
	v_mov_b32_e32 v3, s6
	s_mul_i32 s34, s15, s16
	s_addc_u32 s1, s5, 0
	v_mul_f32_e32 v2, 0x4f7ffffe, v2
	v_cvt_u32_f32_e32 v2, v2
	s_waitcnt lgkmcnt(0)
	s_and_b32 s2, s2, 0xffff
	s_ashr_i32 s35, s34, 31
	v_mad_u64_u32 v[4:5], s[6:7], s2, v3, v[0:1]
	v_readfirstlane_b32 s3, v2
	v_cmp_gt_i64_e32 vcc, s[34:35], v[4:5]
	s_and_saveexec_b64 s[6:7], vcc
	s_cbranch_execz .LBB12_60
; %bb.1:
	s_load_dwordx4 s[20:23], s[4:5], 0xc
	s_load_dwordx2 s[6:7], s[4:5], 0x0
	s_sub_i32 s8, 0, s33
                                        ; implicit-def: $vgpr127 : SGPR spill to VGPR lane
	s_mul_i32 s9, s8, s3
	s_mul_hi_u32 s9, s3, s9
	s_add_i32 s3, s3, s9
	s_waitcnt lgkmcnt(0)
	v_writelane_b32 v127, s6, 0
	v_writelane_b32 v127, s7, 1
	s_abs_i32 s7, s20
	s_mul_hi_u32 s3, s7, s3
	s_mul_i32 s9, s3, s33
	s_ashr_i32 s16, s17, 31
	s_ashr_i32 s6, s20, 31
	s_sub_i32 s7, s7, s9
	s_xor_b32 s6, s6, s16
	s_add_i32 s9, s3, 1
	s_sub_i32 s10, s7, s33
	s_cmp_ge_u32 s7, s33
	s_cselect_b32 s3, s9, s3
	s_cselect_b32 s7, s10, s7
	s_add_i32 s9, s3, 1
	s_cmp_ge_u32 s7, s33
	s_cselect_b32 s3, s9, s3
	s_abs_i32 s93, s14
	v_cvt_f32_u32_e32 v0, s93
	s_load_dword s0, s[0:1], 0x0
	s_abs_i32 s27, s19
	v_cvt_f32_u32_e32 v1, s27
	v_rcp_iflag_f32_e32 v0, v0
	s_abs_i32 s92, s18
	s_waitcnt lgkmcnt(0)
	s_mul_i32 s94, s0, s2
	s_sub_i32 s0, 0, s93
	v_mul_f32_e32 v0, 0x4f7ffffe, v0
	v_cvt_u32_f32_e32 v0, v0
	s_load_dwordx2 s[38:39], s[4:5], 0x1c
	s_load_dwordx2 s[40:41], s[4:5], 0x30
	v_rcp_iflag_f32_e32 v1, v1
	s_load_dwordx4 s[28:31], s[4:5], 0x9c
	s_load_dword s1, s[4:5], 0x7c
	v_mul_lo_u32 v3, s0, v0
	v_mul_hi_u32 v3, v0, v3
	v_add_u32_e32 v0, v0, v3
	buffer_store_dword v0, off, s[96:99], 0 offset:212 ; 4-byte Folded Spill
	v_cvt_f32_u32_e32 v0, s92
	v_mul_f32_e32 v1, 0x4f7ffffe, v1
	v_cvt_u32_f32_e32 v1, v1
	s_sub_i32 s0, 0, s27
	v_rcp_iflag_f32_e32 v0, v0
	s_xor_b32 s3, s3, s6
	v_mul_lo_u32 v3, s0, v1
	s_waitcnt lgkmcnt(0)
	v_writelane_b32 v127, s28, 2
	v_mul_f32_e32 v0, 0x4f7ffffe, v0
	v_cvt_u32_f32_e32 v0, v0
	v_mul_hi_u32 v3, v1, v3
	s_sub_i32 s20, s3, s6
	v_writelane_b32 v127, s29, 3
	s_load_dwordx2 s[6:7], s[4:5], 0x60
	v_add_u32_e32 v1, v1, v3
	s_sub_i32 s0, 0, s92
	v_writelane_b32 v127, s30, 4
	buffer_store_dword v1, off, s[96:99], 0 offset:216 ; 4-byte Folded Spill
	v_mul_lo_u32 v1, s0, v0
	v_writelane_b32 v127, s31, 5
	s_load_dwordx4 s[28:31], s[4:5], 0x50
	v_mul_hi_u32 v1, v0, v1
	v_add_u32_e32 v0, v0, v1
	v_writelane_b32 v127, s1, 6
	buffer_store_dword v0, off, s[96:99], 0 offset:220 ; 4-byte Folded Spill
	v_mul_lo_u32 v0, s8, v2
	s_waitcnt lgkmcnt(0)
	v_writelane_b32 v127, s6, 7
	v_mul_hi_u32 v0, v2, v0
	s_mov_b32 s26, 0
	v_writelane_b32 v127, s7, 8
	s_ashr_i32 s95, s14, 31
	s_ashr_i32 s36, s19, 31
	;; [unrolled: 1-line block ×3, first 2 shown]
	v_add_u32_e32 v0, v2, v0
	s_mov_b64 s[44:45], 0
                                        ; kill: killed $sgpr4 killed $sgpr5
	buffer_store_dword v0, off, s[96:99], 0 offset:224 ; 4-byte Folded Spill
	s_branch .LBB12_3
.LBB12_2:                               ;   in Loop: Header=BB12_3 Depth=1
	s_or_b64 exec, exec, s[46:47]
	buffer_load_dword v0, off, s[96:99], 0 offset:200 ; 4-byte Folded Reload
	v_mov_b32_e32 v2, s41
	s_waitcnt vmcnt(0)
	v_mul_lo_u32 v0, v0, s15
	v_ashrrev_i32_e32 v1, 31, v0
	v_lshlrev_b64 v[0:1], 3, v[0:1]
	v_add_co_u32_e32 v3, vcc, s40, v0
	buffer_load_dword v0, off, s[96:99], 0 offset:196 ; 4-byte Folded Reload
	v_addc_co_u32_e32 v2, vcc, v2, v1, vcc
	s_waitcnt vmcnt(0)
	v_mul_lo_u32 v0, s28, v0
	v_ashrrev_i32_e32 v1, 31, v0
	v_lshlrev_b64 v[0:1], 3, v[0:1]
	v_add_co_u32_e32 v3, vcc, v3, v0
	buffer_load_dword v0, off, s[96:99], 0 offset:192 ; 4-byte Folded Reload
	v_addc_co_u32_e32 v2, vcc, v2, v1, vcc
	s_waitcnt vmcnt(0)
	v_mul_lo_u32 v0, s29, v0
	v_ashrrev_i32_e32 v1, 31, v0
	v_lshlrev_b64 v[0:1], 3, v[0:1]
	v_add_co_u32_e32 v3, vcc, v3, v0
	buffer_load_dword v0, off, s[96:99], 0 offset:188 ; 4-byte Folded Reload
	v_addc_co_u32_e32 v2, vcc, v2, v1, vcc
	s_waitcnt vmcnt(0)
	v_mul_lo_u32 v0, s30, v0
	v_ashrrev_i32_e32 v1, 31, v0
	v_lshlrev_b64 v[0:1], 3, v[0:1]
	v_add_co_u32_e32 v3, vcc, v3, v0
	buffer_load_dword v0, off, s[96:99], 0 offset:184 ; 4-byte Folded Reload
	buffer_load_dword v6, off, s[96:99], 0 offset:204 ; 4-byte Folded Reload
	;; [unrolled: 1-line block ×3, first 2 shown]
	v_addc_co_u32_e32 v2, vcc, v2, v1, vcc
	s_waitcnt vmcnt(2)
	v_mul_lo_u32 v0, s31, v0
	v_ashrrev_i32_e32 v1, 31, v0
	v_lshlrev_b64 v[0:1], 3, v[0:1]
	v_add_co_u32_e32 v0, vcc, v3, v0
	v_addc_co_u32_e32 v1, vcc, v2, v1, vcc
	v_mov_b32_e32 v2, s26
	s_waitcnt vmcnt(1)
	v_add_co_u32_e32 v6, vcc, s94, v6
	s_waitcnt vmcnt(0)
	v_addc_co_u32_e32 v7, vcc, v7, v2, vcc
	v_cmp_le_i64_e32 vcc, s[34:35], v[6:7]
	s_or_b64 s[44:45], vcc, s[44:45]
	global_store_dwordx2 v[0:1], v[4:5], off
	v_pk_mov_b32 v[4:5], v[6:7], v[6:7] op_sel:[0,1]
	s_andn2_b64 exec, exec, s[44:45]
	s_cbranch_execz .LBB12_60
.LBB12_3:                               ; =>This Loop Header: Depth=1
                                        ;     Child Loop BB12_6 Depth 2
	buffer_load_dword v2, off, s[96:99], 0 offset:212 ; 4-byte Folded Reload
	v_sub_u32_e32 v1, 0, v4
	v_max_i32_e32 v1, v4, v1
	v_ashrrev_i32_e32 v0, 31, v4
	buffer_store_dword v4, off, s[96:99], 0 offset:204 ; 4-byte Folded Spill
	s_nop 0
	buffer_store_dword v5, off, s[96:99], 0 offset:208 ; 4-byte Folded Spill
	v_xor_b32_e32 v0, s95, v0
	s_waitcnt vmcnt(2)
	v_mul_hi_u32 v2, v1, v2
	v_mul_lo_u32 v3, v2, s93
	v_sub_u32_e32 v1, v1, v3
	v_add_u32_e32 v3, 1, v2
	v_cmp_le_u32_e32 vcc, s93, v1
	v_cndmask_b32_e32 v2, v2, v3, vcc
	v_subrev_u32_e32 v3, s93, v1
	v_cndmask_b32_e32 v1, v1, v3, vcc
	v_add_u32_e32 v3, 1, v2
	v_cmp_le_u32_e32 vcc, s93, v1
	v_cndmask_b32_e32 v1, v2, v3, vcc
	buffer_load_dword v3, off, s[96:99], 0 offset:216 ; 4-byte Folded Reload
	v_xor_b32_e32 v1, v1, v0
	v_sub_u32_e32 v0, v1, v0
	v_sub_u32_e32 v2, 0, v0
	v_max_i32_e32 v2, v0, v2
	v_mul_lo_u32 v1, v0, s14
	v_sub_u32_e32 v1, v4, v1
	buffer_store_dword v1, off, s[96:99], 0 offset:184 ; 4-byte Folded Spill
	v_ashrrev_i32_e32 v1, 31, v0
	v_xor_b32_e32 v1, s36, v1
	s_waitcnt vmcnt(1)
	v_mul_hi_u32 v3, v2, v3
	v_mul_lo_u32 v4, v3, s27
	v_sub_u32_e32 v2, v2, v4
	v_add_u32_e32 v4, 1, v3
	v_cmp_le_u32_e32 vcc, s27, v2
	v_cndmask_b32_e32 v3, v3, v4, vcc
	v_subrev_u32_e32 v4, s27, v2
	v_cndmask_b32_e32 v2, v2, v4, vcc
	v_add_u32_e32 v4, 1, v3
	v_cmp_le_u32_e32 vcc, s27, v2
	v_cndmask_b32_e32 v2, v3, v4, vcc
	buffer_load_dword v3, off, s[96:99], 0 offset:220 ; 4-byte Folded Reload
	v_xor_b32_e32 v2, v2, v1
	v_sub_u32_e32 v1, v2, v1
	v_mul_lo_u32 v2, v1, s19
	v_sub_u32_e32 v0, v0, v2
	v_sub_u32_e32 v2, 0, v1
	v_max_i32_e32 v2, v1, v2
	buffer_store_dword v0, off, s[96:99], 0 offset:188 ; 4-byte Folded Spill
	v_ashrrev_i32_e32 v0, 31, v1
	v_xor_b32_e32 v0, s37, v0
	s_waitcnt vmcnt(1)
	v_mul_hi_u32 v3, v2, v3
	v_mul_lo_u32 v4, v3, s92
	v_sub_u32_e32 v2, v2, v4
	v_add_u32_e32 v4, 1, v3
	v_cmp_le_u32_e32 vcc, s92, v2
	v_cndmask_b32_e32 v3, v3, v4, vcc
	v_subrev_u32_e32 v4, s92, v2
	v_cndmask_b32_e32 v2, v2, v4, vcc
	v_add_u32_e32 v4, 1, v3
	v_cmp_le_u32_e32 vcc, s92, v2
	v_cndmask_b32_e32 v2, v3, v4, vcc
	buffer_load_dword v3, off, s[96:99], 0 offset:224 ; 4-byte Folded Reload
	v_xor_b32_e32 v2, v2, v0
	v_sub_u32_e32 v0, v2, v0
	v_mul_lo_u32 v2, v0, s18
	v_sub_u32_e32 v1, v1, v2
	v_sub_u32_e32 v2, 0, v0
	v_max_i32_e32 v2, v0, v2
	buffer_store_dword v1, off, s[96:99], 0 offset:192 ; 4-byte Folded Spill
	v_ashrrev_i32_e32 v1, 31, v0
	v_xor_b32_e32 v1, s16, v1
	s_waitcnt vmcnt(1)
	v_mul_hi_u32 v3, v2, v3
	v_mul_lo_u32 v4, v3, s33
	v_sub_u32_e32 v2, v2, v4
	v_add_u32_e32 v4, 1, v3
	v_cmp_le_u32_e32 vcc, s33, v2
	v_cndmask_b32_e32 v3, v3, v4, vcc
	v_subrev_u32_e32 v4, s33, v2
	v_cndmask_b32_e32 v2, v2, v4, vcc
	v_add_u32_e32 v4, 1, v3
	v_cmp_le_u32_e32 vcc, s33, v2
	v_cndmask_b32_e32 v2, v3, v4, vcc
	v_xor_b32_e32 v2, v2, v1
	v_sub_u32_e32 v1, v2, v1
	buffer_store_dword v1, off, s[96:99], 0 offset:200 ; 4-byte Folded Spill
	v_mul_lo_u32 v1, v1, s17
	v_sub_u32_e32 v0, v0, v1
	buffer_store_dword v0, off, s[96:99], 0 offset:196 ; 4-byte Folded Spill
	v_mul_lo_u32 v0, v0, s20
	v_add_u32_e32 v1, s20, v0
	v_cmp_lt_i32_e32 vcc, v0, v1
	v_pk_mov_b32 v[4:5], 0, 0
	s_and_saveexec_b64 s[46:47], vcc
	s_cbranch_execz .LBB12_2
; %bb.4:                                ;   in Loop: Header=BB12_3 Depth=1
	buffer_load_dword v1, off, s[96:99], 0 offset:192 ; 4-byte Folded Reload
	v_readlane_b32 s0, v127, 2
	v_readlane_b32 s2, v127, 4
	;; [unrolled: 1-line block ×4, first 2 shown]
	v_pk_mov_b32 v[62:63], 0, 0
	buffer_load_dword v2, off, s[96:99], 0 offset:184 ; 4-byte Folded Reload
	s_waitcnt vmcnt(1)
	v_add_u32_e32 v6, s0, v1
	buffer_load_dword v1, off, s[96:99], 0 offset:188 ; 4-byte Folded Reload
	v_readlane_b32 s0, v127, 6
	v_add_u32_e32 v9, -2, v6
	v_add_u32_e32 v17, -1, v6
	v_cmp_gt_i32_e64 s[10:11], s21, v6
	v_mul_lo_u32 v11, v6, s22
	s_waitcnt vmcnt(1)
	v_add_u32_e32 v36, s2, v2
	v_mul_lo_u32 v2, s0, v0
	v_ashrrev_i32_e32 v3, 31, v2
	v_add_u32_e32 v37, -1, v36
	v_add_u32_e32 v38, -2, v36
	v_lshlrev_b64 v[2:3], 3, v[2:3]
	v_cmp_gt_i32_e64 s[4:5], s23, v37
	s_waitcnt vmcnt(0)
	v_add_u32_e32 v1, s1, v1
	v_readlane_b32 s0, v127, 7
	v_readlane_b32 s1, v127, 8
	v_mov_b32_e32 v0, s1
	v_add_co_u32_e32 v2, vcc, s0, v2
	v_addc_co_u32_e32 v3, vcc, v0, v3, vcc
	buffer_load_dword v0, off, s[96:99], 0 offset:200 ; 4-byte Folded Reload
	v_readlane_b32 s0, v127, 0
	v_readlane_b32 s1, v127, 1
	v_or_b32_e32 v8, v37, v1
	v_cmp_gt_i32_e64 s[8:9], s22, v1
	v_or_b32_e32 v21, v8, v9
	v_or_b32_e32 v22, v8, v17
	;; [unrolled: 1-line block ×7, first 2 shown]
	v_add_u32_e32 v7, -1, v1
	v_or_b32_e32 v12, v36, v7
	v_or_b32_e32 v27, v12, v9
	;; [unrolled: 1-line block ×5, first 2 shown]
	v_cmp_gt_i32_e64 s[6:7], s22, v7
	v_or_b32_e32 v31, v14, v9
	v_or_b32_e32 v32, v14, v17
	;; [unrolled: 1-line block ×7, first 2 shown]
	s_and_b64 s[84:85], s[4:5], s[8:9]
	s_waitcnt vmcnt(0)
	v_mul_lo_u32 v4, s38, v0
	v_ashrrev_i32_e32 v5, 31, v4
	v_lshlrev_b64 v[4:5], 3, v[4:5]
	v_mov_b32_e32 v0, s1
	v_add_co_u32_e32 v126, vcc, s0, v4
	v_or_b32_e32 v4, v36, v1
	v_addc_co_u32_e32 v50, vcc, v0, v5, vcc
	v_or_b32_e32 v15, v4, v9
	v_or_b32_e32 v19, v4, v17
	;; [unrolled: 1-line block ×3, first 2 shown]
	v_cmp_lt_i32_e32 vcc, -1, v4
	v_cmp_gt_i32_e64 s[0:1], s23, v36
	s_and_b64 s[2:3], s[0:1], vcc
	s_and_b64 s[2:3], s[2:3], s[8:9]
	v_cmp_lt_i32_e32 vcc, -1, v8
	s_and_b64 s[48:49], s[2:3], s[10:11]
	s_and_b64 s[2:3], s[4:5], vcc
	s_and_b64 s[2:3], s[2:3], s[8:9]
	s_and_b64 s[50:51], s[2:3], s[10:11]
	v_cmp_lt_i32_e64 s[2:3], -1, v10
	v_cmp_gt_i32_e32 vcc, s23, v38
	s_and_b64 s[2:3], vcc, s[2:3]
	s_and_b64 s[2:3], s[2:3], s[8:9]
	s_and_b64 s[52:53], s[2:3], s[10:11]
	v_cmp_lt_i32_e64 s[2:3], -1, v12
	s_and_b64 s[2:3], s[0:1], s[2:3]
	s_and_b64 s[2:3], s[2:3], s[6:7]
	s_and_b64 s[54:55], s[2:3], s[10:11]
	v_cmp_lt_i32_e64 s[2:3], -1, v14
	s_and_b64 s[2:3], s[4:5], s[2:3]
	v_add_u32_e32 v5, -2, v1
	s_and_b64 s[2:3], s[2:3], s[6:7]
	v_or_b32_e32 v13, v36, v5
	s_and_b64 s[56:57], s[2:3], s[10:11]
	v_cmp_lt_i32_e64 s[2:3], -1, v16
	s_and_b64 s[2:3], vcc, s[2:3]
	v_or_b32_e32 v35, v13, v9
	v_or_b32_e32 v39, v13, v17
	;; [unrolled: 1-line block ×3, first 2 shown]
	s_and_b64 s[2:3], s[2:3], s[6:7]
	v_cmp_lt_i32_e64 s[12:13], -1, v13
	v_or_b32_e32 v20, v37, v5
	s_and_b64 s[58:59], s[2:3], s[10:11]
	v_cmp_gt_i32_e64 s[2:3], s22, v5
	s_and_b64 s[12:13], s[0:1], s[12:13]
	s_and_b64 s[12:13], s[12:13], s[2:3]
	v_or_b32_e32 v13, v20, v9
	v_or_b32_e32 v40, v20, v17
	;; [unrolled: 1-line block ×3, first 2 shown]
	s_and_b64 s[60:61], s[12:13], s[10:11]
	v_cmp_lt_i32_e64 s[12:13], -1, v20
	v_or_b32_e32 v23, v38, v5
	s_and_b64 s[12:13], s[4:5], s[12:13]
	s_and_b64 s[12:13], s[12:13], s[2:3]
	v_or_b32_e32 v6, v23, v6
	s_and_b64 s[62:63], s[12:13], s[10:11]
	v_cmp_lt_i32_e64 s[12:13], -1, v6
	s_and_b64 s[12:13], vcc, s[12:13]
	s_and_b64 s[12:13], s[12:13], s[2:3]
	s_and_b64 s[64:65], s[12:13], s[10:11]
	v_cmp_lt_i32_e64 s[12:13], -1, v19
	s_and_b64 s[82:83], s[0:1], s[8:9]
	v_cmp_gt_i32_e64 s[10:11], s21, v17
	s_and_b64 s[12:13], s[82:83], s[12:13]
	s_and_b64 s[66:67], s[12:13], s[10:11]
	v_cmp_lt_i32_e64 s[12:13], -1, v22
	s_and_b64 s[12:13], s[84:85], s[12:13]
	s_and_b64 s[68:69], s[12:13], s[10:11]
	v_cmp_lt_i32_e64 s[12:13], -1, v24
	s_and_b64 s[86:87], vcc, s[8:9]
	s_and_b64 s[8:9], s[86:87], s[12:13]
	s_and_b64 s[70:71], s[8:9], s[10:11]
	v_cmp_lt_i32_e64 s[8:9], -1, v29
	s_and_b64 s[8:9], s[0:1], s[8:9]
	s_and_b64 s[8:9], s[8:9], s[6:7]
	;; [unrolled: 1-line block ×3, first 2 shown]
	v_cmp_lt_i32_e64 s[8:9], -1, v32
	s_and_b64 s[8:9], s[4:5], s[8:9]
	s_and_b64 s[8:9], s[8:9], s[6:7]
	;; [unrolled: 1-line block ×3, first 2 shown]
	v_cmp_lt_i32_e64 s[8:9], -1, v34
	s_and_b64 s[8:9], vcc, s[8:9]
	s_and_b64 s[8:9], s[8:9], s[6:7]
	s_and_b64 s[76:77], s[8:9], s[10:11]
	v_cmp_lt_i32_e64 s[8:9], -1, v39
	s_and_b64 s[8:9], s[0:1], s[8:9]
	s_and_b64 s[8:9], s[8:9], s[2:3]
	s_and_b64 s[78:79], s[8:9], s[10:11]
	v_cmp_lt_i32_e64 s[8:9], -1, v40
	s_and_b64 s[8:9], s[4:5], s[8:9]
	v_or_b32_e32 v42, v23, v17
	s_and_b64 s[8:9], s[8:9], s[2:3]
	s_and_b64 s[80:81], s[8:9], s[10:11]
	v_cmp_lt_i32_e64 s[8:9], -1, v42
	s_and_b64 s[8:9], vcc, s[8:9]
	s_and_b64 s[8:9], s[8:9], s[2:3]
	v_cmp_lt_i32_e64 s[12:13], -1, v15
	s_and_b64 s[10:11], s[8:9], s[10:11]
	v_cmp_lt_i32_e64 s[8:9], -1, v21
	s_and_b64 s[12:13], s[82:83], s[12:13]
	s_and_b64 s[82:83], s[84:85], s[8:9]
	v_cmp_lt_i32_e64 s[8:9], -1, v25
	v_add_u32_e32 v0, v1, v11
	s_and_b64 s[84:85], s[86:87], s[8:9]
	v_cmp_lt_i32_e64 s[8:9], -1, v27
	v_mul_lo_u32 v0, v0, s23
	s_and_b64 s[8:9], s[0:1], s[8:9]
	v_add_u32_e32 v4, v36, v0
	v_add_u32_e32 v8, v37, v0
	;; [unrolled: 1-line block ×4, first 2 shown]
	s_and_b64 s[86:87], s[8:9], s[6:7]
	v_cmp_lt_i32_e64 s[8:9], -1, v31
	v_mul_lo_u32 v0, v0, s23
	s_and_b64 s[8:9], s[4:5], s[8:9]
	v_add_u32_e32 v12, v36, v0
	v_add_u32_e32 v14, v37, v0
	;; [unrolled: 1-line block ×4, first 2 shown]
	v_subrev_u32_e32 v11, s22, v11
	s_and_b64 s[88:89], s[8:9], s[6:7]
	v_cmp_lt_i32_e64 s[8:9], -1, v33
	v_add_u32_e32 v6, v1, v11
	s_and_b64 s[8:9], vcc, s[8:9]
	v_mul_lo_u32 v17, v6, s23
	s_and_b64 s[90:91], s[8:9], s[6:7]
	v_cmp_lt_i32_e64 s[6:7], -1, v35
	v_add_u32_e32 v6, v36, v17
	v_add_u32_e32 v26, v37, v17
	;; [unrolled: 1-line block ×4, first 2 shown]
	s_and_b64 s[42:43], s[0:1], s[6:7]
	v_cmp_lt_i32_e64 s[0:1], -1, v13
	v_or_b32_e32 v41, v23, v9
	v_mul_lo_u32 v17, v17, s23
	s_and_b64 s[24:25], s[4:5], s[0:1]
	v_cmp_gt_i32_e64 s[0:1], s21, v9
	v_subrev_u32_e32 v9, s22, v11
	v_add_u32_e32 v30, v36, v17
	v_add_u32_e32 v32, v37, v17
	;; [unrolled: 1-line block ×6, first 2 shown]
	v_ashrrev_i32_e32 v5, 31, v4
	v_mul_lo_u32 v1, v1, s23
	v_lshlrev_b64 v[4:5], 3, v[4:5]
	v_add_u32_e32 v42, v36, v1
	v_add_u32_e32 v44, v37, v1
	;; [unrolled: 1-line block ×4, first 2 shown]
	v_ashrrev_i32_e32 v9, 31, v8
	buffer_store_dword v4, off, s[96:99], 0 ; 4-byte Folded Spill
	s_nop 0
	buffer_store_dword v5, off, s[96:99], 0 offset:4 ; 4-byte Folded Spill
	v_lshlrev_b64 v[4:5], 3, v[8:9]
	v_ashrrev_i32_e32 v11, 31, v10
	buffer_store_dword v4, off, s[96:99], 0 offset:8 ; 4-byte Folded Spill
	s_nop 0
	buffer_store_dword v5, off, s[96:99], 0 offset:12 ; 4-byte Folded Spill
	v_lshlrev_b64 v[4:5], 3, v[10:11]
	v_ashrrev_i32_e32 v13, 31, v12
	buffer_store_dword v4, off, s[96:99], 0 offset:16 ; 4-byte Folded Spill
	;; [unrolled: 5-line block ×3, first 2 shown]
	s_nop 0
	buffer_store_dword v5, off, s[96:99], 0 offset:28 ; 4-byte Folded Spill
	v_mul_lo_u32 v17, v17, s23
	v_lshlrev_b64 v[4:5], 3, v[14:15]
	v_mul_lo_u32 v0, v0, s23
	v_add_u32_e32 v22, v36, v17
	v_add_u32_e32 v24, v37, v17
	;; [unrolled: 1-line block ×3, first 2 shown]
	v_ashrrev_i32_e32 v17, 31, v16
	buffer_store_dword v4, off, s[96:99], 0 offset:32 ; 4-byte Folded Spill
	s_nop 0
	buffer_store_dword v5, off, s[96:99], 0 offset:36 ; 4-byte Folded Spill
	v_add_u32_e32 v18, v36, v0
	v_lshlrev_b64 v[4:5], 3, v[16:17]
	v_ashrrev_i32_e32 v19, 31, v18
	buffer_store_dword v4, off, s[96:99], 0 offset:40 ; 4-byte Folded Spill
	s_nop 0
	buffer_store_dword v5, off, s[96:99], 0 offset:44 ; 4-byte Folded Spill
	v_add_u32_e32 v20, v37, v0
	v_add_u32_e32 v0, v38, v0
	v_mul_lo_u32 v1, v1, s23
	v_lshlrev_b64 v[4:5], 3, v[18:19]
	v_add_u32_e32 v48, v36, v1
	v_add_u32_e32 v52, v37, v1
	;; [unrolled: 1-line block ×3, first 2 shown]
	v_ashrrev_i32_e32 v21, 31, v20
	v_ashrrev_i32_e32 v1, 31, v0
	buffer_store_dword v4, off, s[96:99], 0 offset:48 ; 4-byte Folded Spill
	s_nop 0
	buffer_store_dword v5, off, s[96:99], 0 offset:52 ; 4-byte Folded Spill
	v_lshlrev_b64 v[4:5], 3, v[20:21]
	v_lshlrev_b64 v[0:1], 3, v[0:1]
	v_ashrrev_i32_e32 v7, 31, v6
	buffer_store_dword v4, off, s[96:99], 0 offset:56 ; 4-byte Folded Spill
	s_nop 0
	buffer_store_dword v5, off, s[96:99], 0 offset:60 ; 4-byte Folded Spill
	buffer_store_dword v0, off, s[96:99], 0 offset:64 ; 4-byte Folded Spill
	s_nop 0
	buffer_store_dword v1, off, s[96:99], 0 offset:68 ; 4-byte Folded Spill
	v_lshlrev_b64 v[0:1], 3, v[6:7]
	v_ashrrev_i32_e32 v27, 31, v26
	buffer_store_dword v0, off, s[96:99], 0 offset:72 ; 4-byte Folded Spill
	s_nop 0
	buffer_store_dword v1, off, s[96:99], 0 offset:76 ; 4-byte Folded Spill
	v_lshlrev_b64 v[0:1], 3, v[26:27]
	v_ashrrev_i32_e32 v29, 31, v28
	;; [unrolled: 5-line block ×7, first 2 shown]
	buffer_store_dword v0, off, s[96:99], 0 offset:120 ; 4-byte Folded Spill
	s_nop 0
	buffer_store_dword v1, off, s[96:99], 0 offset:124 ; 4-byte Folded Spill
	v_lshlrev_b64 v[0:1], 3, v[24:25]
	v_cmp_lt_i32_e64 s[4:5], -1, v41
	v_ashrrev_i32_e32 v41, 31, v40
	buffer_store_dword v0, off, s[96:99], 0 offset:128 ; 4-byte Folded Spill
	s_nop 0
	buffer_store_dword v1, off, s[96:99], 0 offset:132 ; 4-byte Folded Spill
	v_lshlrev_b64 v[0:1], 3, v[40:41]
	v_ashrrev_i32_e32 v43, 31, v42
	buffer_store_dword v0, off, s[96:99], 0 offset:136 ; 4-byte Folded Spill
	s_nop 0
	buffer_store_dword v1, off, s[96:99], 0 offset:140 ; 4-byte Folded Spill
	v_lshlrev_b64 v[0:1], 3, v[42:43]
	;; [unrolled: 5-line block ×6, first 2 shown]
	buffer_store_dword v0, off, s[96:99], 0 offset:176 ; 4-byte Folded Spill
	s_nop 0
	buffer_store_dword v1, off, s[96:99], 0 offset:180 ; 4-byte Folded Spill
	buffer_load_dword v0, off, s[96:99], 0 offset:196 ; 4-byte Folded Reload
	v_mul_lo_u32 v39, v39, s23
	s_and_b64 s[4:5], vcc, s[4:5]
	s_and_b64 s[42:43], s[42:43], s[2:3]
	v_add_u32_e32 v56, v36, v39
	s_and_b64 s[24:25], s[24:25], s[2:3]
	v_add_u32_e32 v36, v37, v39
	;; [unrolled: 2-line block ×3, first 2 shown]
	s_and_b64 s[6:7], s[12:13], s[0:1]
	s_and_b64 s[8:9], s[82:83], s[0:1]
	;; [unrolled: 1-line block ×6, first 2 shown]
	v_ashrrev_i32_e32 v55, 31, v54
	s_and_b64 s[88:89], s[42:43], s[0:1]
	v_ashrrev_i32_e32 v57, 31, v56
	s_and_b64 s[90:91], s[24:25], s[0:1]
	;; [unrolled: 2-line block ×3, first 2 shown]
	v_ashrrev_i32_e32 v39, 31, v38
	s_mul_i32 s2, s39, s20
	v_lshlrev_b64 v[52:53], 3, v[54:55]
	v_lshlrev_b64 v[54:55], 3, v[56:57]
	;; [unrolled: 1-line block ×4, first 2 shown]
	s_mov_b32 s4, s20
	v_pk_mov_b32 v[4:5], v[62:63], v[62:63] op_sel:[0,1]
	s_waitcnt vmcnt(0)
	v_mul_lo_u32 v60, s2, v0
	s_branch .LBB12_6
.LBB12_5:                               ;   in Loop: Header=BB12_6 Depth=2
	s_or_b64 exec, exec, s[2:3]
	s_waitcnt vmcnt(26)
	v_fmac_f64_e32 v[4:5], v[64:65], v[66:67]
	s_waitcnt vmcnt(25)
	v_fmac_f64_e32 v[4:5], v[68:69], v[72:73]
	;; [unrolled: 2-line block ×26, first 2 shown]
	v_add_co_u32_e32 v2, vcc, 0xd8, v2
	s_add_i32 s4, s4, -1
	s_waitcnt vmcnt(0)
	v_fmac_f64_e32 v[4:5], v[48:49], v[44:45]
	v_addc_co_u32_e32 v3, vcc, 0, v3, vcc
	s_cmp_eq_u32 s4, 0
	v_add_u32_e32 v60, s39, v60
	s_cbranch_scc1 .LBB12_2
.LBB12_6:                               ;   Parent Loop BB12_3 Depth=1
                                        ; =>  This Inner Loop Header: Depth=2
	global_load_dwordx2 v[64:65], v[2:3], off
	v_ashrrev_i32_e32 v61, 31, v60
	v_lshlrev_b64 v[0:1], 3, v[60:61]
	v_add_co_u32_e32 v51, vcc, v126, v0
	v_addc_co_u32_e32 v61, vcc, v50, v1, vcc
	v_pk_mov_b32 v[66:67], v[62:63], v[62:63] op_sel:[0,1]
	s_and_saveexec_b64 s[2:3], s[48:49]
	s_cbranch_execz .LBB12_8
; %bb.7:                                ;   in Loop: Header=BB12_6 Depth=2
	buffer_load_dword v0, off, s[96:99], 0  ; 4-byte Folded Reload
	buffer_load_dword v1, off, s[96:99], 0 offset:4 ; 4-byte Folded Reload
	s_waitcnt vmcnt(1)
	v_add_co_u32_e32 v0, vcc, v51, v0
	s_waitcnt vmcnt(0)
	v_addc_co_u32_e32 v1, vcc, v61, v1, vcc
	global_load_dwordx2 v[66:67], v[0:1], off
.LBB12_8:                               ;   in Loop: Header=BB12_6 Depth=2
	s_or_b64 exec, exec, s[2:3]
	global_load_dwordx2 v[68:69], v[2:3], off offset:8
	v_pk_mov_b32 v[70:71], 0, 0
	v_pk_mov_b32 v[72:73], v[70:71], v[70:71] op_sel:[0,1]
	s_and_saveexec_b64 s[2:3], s[50:51]
	s_cbranch_execz .LBB12_10
; %bb.9:                                ;   in Loop: Header=BB12_6 Depth=2
	buffer_load_dword v0, off, s[96:99], 0 offset:8 ; 4-byte Folded Reload
	buffer_load_dword v1, off, s[96:99], 0 offset:12 ; 4-byte Folded Reload
	s_waitcnt vmcnt(1)
	v_add_co_u32_e32 v0, vcc, v51, v0
	s_waitcnt vmcnt(0)
	v_addc_co_u32_e32 v1, vcc, v61, v1, vcc
	global_load_dwordx2 v[72:73], v[0:1], off
.LBB12_10:                              ;   in Loop: Header=BB12_6 Depth=2
	s_or_b64 exec, exec, s[2:3]
	global_load_dwordx2 v[74:75], v[2:3], off offset:16
	s_and_saveexec_b64 s[2:3], s[52:53]
	s_cbranch_execz .LBB12_12
; %bb.11:                               ;   in Loop: Header=BB12_6 Depth=2
	buffer_load_dword v0, off, s[96:99], 0 offset:16 ; 4-byte Folded Reload
	buffer_load_dword v1, off, s[96:99], 0 offset:20 ; 4-byte Folded Reload
	s_waitcnt vmcnt(1)
	v_add_co_u32_e32 v0, vcc, v51, v0
	s_waitcnt vmcnt(0)
	v_addc_co_u32_e32 v1, vcc, v61, v1, vcc
	global_load_dwordx2 v[70:71], v[0:1], off
.LBB12_12:                              ;   in Loop: Header=BB12_6 Depth=2
	s_or_b64 exec, exec, s[2:3]
	global_load_dwordx2 v[76:77], v[2:3], off offset:24
	v_pk_mov_b32 v[78:79], 0, 0
	v_pk_mov_b32 v[80:81], v[78:79], v[78:79] op_sel:[0,1]
	s_and_saveexec_b64 s[2:3], s[54:55]
	s_cbranch_execz .LBB12_14
; %bb.13:                               ;   in Loop: Header=BB12_6 Depth=2
	buffer_load_dword v0, off, s[96:99], 0 offset:24 ; 4-byte Folded Reload
	buffer_load_dword v1, off, s[96:99], 0 offset:28 ; 4-byte Folded Reload
	s_waitcnt vmcnt(1)
	v_add_co_u32_e32 v0, vcc, v51, v0
	s_waitcnt vmcnt(0)
	v_addc_co_u32_e32 v1, vcc, v61, v1, vcc
	global_load_dwordx2 v[80:81], v[0:1], off
.LBB12_14:                              ;   in Loop: Header=BB12_6 Depth=2
	s_or_b64 exec, exec, s[2:3]
	global_load_dwordx2 v[82:83], v[2:3], off offset:32
	s_and_saveexec_b64 s[2:3], s[56:57]
	s_cbranch_execz .LBB12_16
; %bb.15:                               ;   in Loop: Header=BB12_6 Depth=2
	buffer_load_dword v0, off, s[96:99], 0 offset:32 ; 4-byte Folded Reload
	buffer_load_dword v1, off, s[96:99], 0 offset:36 ; 4-byte Folded Reload
	s_waitcnt vmcnt(1)
	v_add_co_u32_e32 v0, vcc, v51, v0
	s_waitcnt vmcnt(0)
	v_addc_co_u32_e32 v1, vcc, v61, v1, vcc
	global_load_dwordx2 v[78:79], v[0:1], off
.LBB12_16:                              ;   in Loop: Header=BB12_6 Depth=2
	s_or_b64 exec, exec, s[2:3]
	global_load_dwordx2 v[84:85], v[2:3], off offset:40
	v_pk_mov_b32 v[86:87], 0, 0
	v_pk_mov_b32 v[88:89], v[86:87], v[86:87] op_sel:[0,1]
	s_and_saveexec_b64 s[2:3], s[58:59]
	s_cbranch_execz .LBB12_18
; %bb.17:                               ;   in Loop: Header=BB12_6 Depth=2
	buffer_load_dword v0, off, s[96:99], 0 offset:40 ; 4-byte Folded Reload
	buffer_load_dword v1, off, s[96:99], 0 offset:44 ; 4-byte Folded Reload
	s_waitcnt vmcnt(1)
	v_add_co_u32_e32 v0, vcc, v51, v0
	s_waitcnt vmcnt(0)
	v_addc_co_u32_e32 v1, vcc, v61, v1, vcc
	global_load_dwordx2 v[88:89], v[0:1], off
.LBB12_18:                              ;   in Loop: Header=BB12_6 Depth=2
	;; [unrolled: 28-line block ×10, first 2 shown]
	s_or_b64 exec, exec, s[2:3]
	global_load_dwordx2 v[32:33], v[2:3], off offset:176
	s_and_saveexec_b64 s[2:3], s[84:85]
	s_cbranch_execz .LBB12_52
; %bb.51:                               ;   in Loop: Header=BB12_6 Depth=2
	buffer_load_dword v28, off, s[96:99], 0 offset:176 ; 4-byte Folded Reload
	buffer_load_dword v29, off, s[96:99], 0 offset:180 ; 4-byte Folded Reload
	s_waitcnt vmcnt(1)
	v_add_co_u32_e32 v28, vcc, v51, v28
	s_waitcnt vmcnt(0)
	v_addc_co_u32_e32 v29, vcc, v61, v29, vcc
	global_load_dwordx2 v[28:29], v[28:29], off
.LBB12_52:                              ;   in Loop: Header=BB12_6 Depth=2
	s_or_b64 exec, exec, s[2:3]
	global_load_dwordx2 v[34:35], v[2:3], off offset:184
	v_pk_mov_b32 v[36:37], 0, 0
	v_pk_mov_b32 v[38:39], v[36:37], v[36:37] op_sel:[0,1]
	s_and_saveexec_b64 s[2:3], s[86:87]
	s_cbranch_execz .LBB12_54
; %bb.53:                               ;   in Loop: Header=BB12_6 Depth=2
	v_add_co_u32_e32 v38, vcc, v51, v52
	v_addc_co_u32_e32 v39, vcc, v61, v53, vcc
	global_load_dwordx2 v[38:39], v[38:39], off
.LBB12_54:                              ;   in Loop: Header=BB12_6 Depth=2
	s_or_b64 exec, exec, s[2:3]
	global_load_dwordx2 v[40:41], v[2:3], off offset:192
	s_and_saveexec_b64 s[2:3], s[88:89]
	s_cbranch_execz .LBB12_56
; %bb.55:                               ;   in Loop: Header=BB12_6 Depth=2
	v_add_co_u32_e32 v36, vcc, v51, v54
	v_addc_co_u32_e32 v37, vcc, v61, v55, vcc
	global_load_dwordx2 v[36:37], v[36:37], off
.LBB12_56:                              ;   in Loop: Header=BB12_6 Depth=2
	s_or_b64 exec, exec, s[2:3]
	global_load_dwordx2 v[42:43], v[2:3], off offset:200
	v_pk_mov_b32 v[44:45], 0, 0
	v_pk_mov_b32 v[46:47], v[44:45], v[44:45] op_sel:[0,1]
	s_and_saveexec_b64 s[2:3], s[90:91]
	s_cbranch_execz .LBB12_58
; %bb.57:                               ;   in Loop: Header=BB12_6 Depth=2
	v_add_co_u32_e32 v46, vcc, v51, v56
	v_addc_co_u32_e32 v47, vcc, v61, v57, vcc
	global_load_dwordx2 v[46:47], v[46:47], off
.LBB12_58:                              ;   in Loop: Header=BB12_6 Depth=2
	s_or_b64 exec, exec, s[2:3]
	global_load_dwordx2 v[48:49], v[2:3], off offset:208
	s_and_saveexec_b64 s[2:3], s[0:1]
	s_cbranch_execz .LBB12_5
; %bb.59:                               ;   in Loop: Header=BB12_6 Depth=2
	v_add_co_u32_e32 v44, vcc, v51, v58
	v_addc_co_u32_e32 v45, vcc, v61, v59, vcc
	global_load_dwordx2 v[44:45], v[44:45], off
	s_branch .LBB12_5
.LBB12_60:
	s_endpgm
	.section	.rodata,"a",@progbits
	.p2align	6, 0x0
	.amdhsa_kernel _ZN2at6native12_GLOBAL__N_143conv_depthwise3d_cuda_backward_input_kernelIddLi3ELi3ELi3ELi1ELi1ELi1ELi1ELi1ELi1EEEvN5torch10headeronly6detail27GenericPackedTensorAccessorINS5_14TensorAccessorIN3c108ArrayRefIlEEKT_Lm4ENS4_16DefaultPtrTraitsEiEENS_6detail16IndexBoundsCheckILm5EiEESC_Lm5ESD_iEENS6_INS7_ISA_SB_Lm4ESD_iEESH_SB_Lm5ESD_iEESI_iiiiiiiii
		.amdhsa_group_segment_fixed_size 0
		.amdhsa_private_segment_fixed_size 232
		.amdhsa_kernarg_size 440
		.amdhsa_user_sgpr_count 6
		.amdhsa_user_sgpr_private_segment_buffer 1
		.amdhsa_user_sgpr_dispatch_ptr 0
		.amdhsa_user_sgpr_queue_ptr 0
		.amdhsa_user_sgpr_kernarg_segment_ptr 1
		.amdhsa_user_sgpr_dispatch_id 0
		.amdhsa_user_sgpr_flat_scratch_init 0
		.amdhsa_user_sgpr_kernarg_preload_length 0
		.amdhsa_user_sgpr_kernarg_preload_offset 0
		.amdhsa_user_sgpr_private_segment_size 0
		.amdhsa_uses_dynamic_stack 0
		.amdhsa_system_sgpr_private_segment_wavefront_offset 1
		.amdhsa_system_sgpr_workgroup_id_x 1
		.amdhsa_system_sgpr_workgroup_id_y 0
		.amdhsa_system_sgpr_workgroup_id_z 0
		.amdhsa_system_sgpr_workgroup_info 0
		.amdhsa_system_vgpr_workitem_id 0
		.amdhsa_next_free_vgpr 128
		.amdhsa_next_free_sgpr 100
		.amdhsa_accum_offset 128
		.amdhsa_reserve_vcc 1
		.amdhsa_reserve_flat_scratch 0
		.amdhsa_float_round_mode_32 0
		.amdhsa_float_round_mode_16_64 0
		.amdhsa_float_denorm_mode_32 3
		.amdhsa_float_denorm_mode_16_64 3
		.amdhsa_dx10_clamp 1
		.amdhsa_ieee_mode 1
		.amdhsa_fp16_overflow 0
		.amdhsa_tg_split 0
		.amdhsa_exception_fp_ieee_invalid_op 0
		.amdhsa_exception_fp_denorm_src 0
		.amdhsa_exception_fp_ieee_div_zero 0
		.amdhsa_exception_fp_ieee_overflow 0
		.amdhsa_exception_fp_ieee_underflow 0
		.amdhsa_exception_fp_ieee_inexact 0
		.amdhsa_exception_int_div_zero 0
	.end_amdhsa_kernel
	.section	.text._ZN2at6native12_GLOBAL__N_143conv_depthwise3d_cuda_backward_input_kernelIddLi3ELi3ELi3ELi1ELi1ELi1ELi1ELi1ELi1EEEvN5torch10headeronly6detail27GenericPackedTensorAccessorINS5_14TensorAccessorIN3c108ArrayRefIlEEKT_Lm4ENS4_16DefaultPtrTraitsEiEENS_6detail16IndexBoundsCheckILm5EiEESC_Lm5ESD_iEENS6_INS7_ISA_SB_Lm4ESD_iEESH_SB_Lm5ESD_iEESI_iiiiiiiii,"axG",@progbits,_ZN2at6native12_GLOBAL__N_143conv_depthwise3d_cuda_backward_input_kernelIddLi3ELi3ELi3ELi1ELi1ELi1ELi1ELi1ELi1EEEvN5torch10headeronly6detail27GenericPackedTensorAccessorINS5_14TensorAccessorIN3c108ArrayRefIlEEKT_Lm4ENS4_16DefaultPtrTraitsEiEENS_6detail16IndexBoundsCheckILm5EiEESC_Lm5ESD_iEENS6_INS7_ISA_SB_Lm4ESD_iEESH_SB_Lm5ESD_iEESI_iiiiiiiii,comdat
.Lfunc_end12:
	.size	_ZN2at6native12_GLOBAL__N_143conv_depthwise3d_cuda_backward_input_kernelIddLi3ELi3ELi3ELi1ELi1ELi1ELi1ELi1ELi1EEEvN5torch10headeronly6detail27GenericPackedTensorAccessorINS5_14TensorAccessorIN3c108ArrayRefIlEEKT_Lm4ENS4_16DefaultPtrTraitsEiEENS_6detail16IndexBoundsCheckILm5EiEESC_Lm5ESD_iEENS6_INS7_ISA_SB_Lm4ESD_iEESH_SB_Lm5ESD_iEESI_iiiiiiiii, .Lfunc_end12-_ZN2at6native12_GLOBAL__N_143conv_depthwise3d_cuda_backward_input_kernelIddLi3ELi3ELi3ELi1ELi1ELi1ELi1ELi1ELi1EEEvN5torch10headeronly6detail27GenericPackedTensorAccessorINS5_14TensorAccessorIN3c108ArrayRefIlEEKT_Lm4ENS4_16DefaultPtrTraitsEiEENS_6detail16IndexBoundsCheckILm5EiEESC_Lm5ESD_iEENS6_INS7_ISA_SB_Lm4ESD_iEESH_SB_Lm5ESD_iEESI_iiiiiiiii
                                        ; -- End function
	.section	.AMDGPU.csdata,"",@progbits
; Kernel info:
; codeLenInByte = 5396
; NumSgprs: 104
; NumVgprs: 128
; NumAgprs: 0
; TotalNumVgprs: 128
; ScratchSize: 232
; MemoryBound: 0
; FloatMode: 240
; IeeeMode: 1
; LDSByteSize: 0 bytes/workgroup (compile time only)
; SGPRBlocks: 12
; VGPRBlocks: 15
; NumSGPRsForWavesPerEU: 104
; NumVGPRsForWavesPerEU: 128
; AccumOffset: 128
; Occupancy: 4
; WaveLimiterHint : 0
; COMPUTE_PGM_RSRC2:SCRATCH_EN: 1
; COMPUTE_PGM_RSRC2:USER_SGPR: 6
; COMPUTE_PGM_RSRC2:TRAP_HANDLER: 0
; COMPUTE_PGM_RSRC2:TGID_X_EN: 1
; COMPUTE_PGM_RSRC2:TGID_Y_EN: 0
; COMPUTE_PGM_RSRC2:TGID_Z_EN: 0
; COMPUTE_PGM_RSRC2:TIDIG_COMP_CNT: 0
; COMPUTE_PGM_RSRC3_GFX90A:ACCUM_OFFSET: 31
; COMPUTE_PGM_RSRC3_GFX90A:TG_SPLIT: 0
	.section	.text._ZN2at6native12_GLOBAL__N_143conv_depthwise3d_cuda_backward_input_kernelIddLi3ELi3ELi3ELi1ELi1ELi1ELin1ELin1ELin1EEEvN5torch10headeronly6detail27GenericPackedTensorAccessorINS5_14TensorAccessorIN3c108ArrayRefIlEEKT_Lm4ENS4_16DefaultPtrTraitsEiEENS_6detail16IndexBoundsCheckILm5EiEESC_Lm5ESD_iEENS6_INS7_ISA_SB_Lm4ESD_iEESH_SB_Lm5ESD_iEESI_iiiiiiiii,"axG",@progbits,_ZN2at6native12_GLOBAL__N_143conv_depthwise3d_cuda_backward_input_kernelIddLi3ELi3ELi3ELi1ELi1ELi1ELin1ELin1ELin1EEEvN5torch10headeronly6detail27GenericPackedTensorAccessorINS5_14TensorAccessorIN3c108ArrayRefIlEEKT_Lm4ENS4_16DefaultPtrTraitsEiEENS_6detail16IndexBoundsCheckILm5EiEESC_Lm5ESD_iEENS6_INS7_ISA_SB_Lm4ESD_iEESH_SB_Lm5ESD_iEESI_iiiiiiiii,comdat
	.globl	_ZN2at6native12_GLOBAL__N_143conv_depthwise3d_cuda_backward_input_kernelIddLi3ELi3ELi3ELi1ELi1ELi1ELin1ELin1ELin1EEEvN5torch10headeronly6detail27GenericPackedTensorAccessorINS5_14TensorAccessorIN3c108ArrayRefIlEEKT_Lm4ENS4_16DefaultPtrTraitsEiEENS_6detail16IndexBoundsCheckILm5EiEESC_Lm5ESD_iEENS6_INS7_ISA_SB_Lm4ESD_iEESH_SB_Lm5ESD_iEESI_iiiiiiiii ; -- Begin function _ZN2at6native12_GLOBAL__N_143conv_depthwise3d_cuda_backward_input_kernelIddLi3ELi3ELi3ELi1ELi1ELi1ELin1ELin1ELin1EEEvN5torch10headeronly6detail27GenericPackedTensorAccessorINS5_14TensorAccessorIN3c108ArrayRefIlEEKT_Lm4ENS4_16DefaultPtrTraitsEiEENS_6detail16IndexBoundsCheckILm5EiEESC_Lm5ESD_iEENS6_INS7_ISA_SB_Lm4ESD_iEESH_SB_Lm5ESD_iEESI_iiiiiiiii
	.p2align	8
	.type	_ZN2at6native12_GLOBAL__N_143conv_depthwise3d_cuda_backward_input_kernelIddLi3ELi3ELi3ELi1ELi1ELi1ELin1ELin1ELin1EEEvN5torch10headeronly6detail27GenericPackedTensorAccessorINS5_14TensorAccessorIN3c108ArrayRefIlEEKT_Lm4ENS4_16DefaultPtrTraitsEiEENS_6detail16IndexBoundsCheckILm5EiEESC_Lm5ESD_iEENS6_INS7_ISA_SB_Lm4ESD_iEESH_SB_Lm5ESD_iEESI_iiiiiiiii,@function
_ZN2at6native12_GLOBAL__N_143conv_depthwise3d_cuda_backward_input_kernelIddLi3ELi3ELi3ELi1ELi1ELi1ELin1ELin1ELin1EEEvN5torch10headeronly6detail27GenericPackedTensorAccessorINS5_14TensorAccessorIN3c108ArrayRefIlEEKT_Lm4ENS4_16DefaultPtrTraitsEiEENS_6detail16IndexBoundsCheckILm5EiEESC_Lm5ESD_iEENS6_INS7_ISA_SB_Lm4ESD_iEESH_SB_Lm5ESD_iEESI_iiiiiiiii: ; @_ZN2at6native12_GLOBAL__N_143conv_depthwise3d_cuda_backward_input_kernelIddLi3ELi3ELi3ELi1ELi1ELi1ELin1ELin1ELin1EEEvN5torch10headeronly6detail27GenericPackedTensorAccessorINS5_14TensorAccessorIN3c108ArrayRefIlEEKT_Lm4ENS4_16DefaultPtrTraitsEiEENS_6detail16IndexBoundsCheckILm5EiEESC_Lm5ESD_iEENS6_INS7_ISA_SB_Lm4ESD_iEESH_SB_Lm5ESD_iEESI_iiiiiiiii
; %bb.0:
	s_load_dwordx4 s[12:15], s[4:5], 0x38
	s_load_dwordx2 s[16:17], s[4:5], 0x48
	s_mov_b64 s[98:99], s[2:3]
	s_mov_b64 s[96:97], s[0:1]
	s_add_u32 s96, s96, s7
	s_addc_u32 s97, s97, 0
	s_waitcnt lgkmcnt(0)
	s_abs_i32 s0, s13
	v_cvt_f32_u32_e32 v2, s0
	s_load_dword s2, s[4:5], 0xc4
                                        ; implicit-def: $vgpr126 : SGPR spill to VGPR lane
	s_mul_i32 s8, s17, s12
	v_writelane_b32 v126, s0, 0
	v_rcp_iflag_f32_e32 v2, v2
	s_add_u32 s0, s4, 0xb8
	v_mov_b32_e32 v1, 0
	v_mov_b32_e32 v3, s6
	v_mul_f32_e32 v2, 0x4f7ffffe, v2
	v_cvt_u32_f32_e32 v2, v2
	s_addc_u32 s1, s5, 0
	s_waitcnt lgkmcnt(0)
	s_and_b32 s2, s2, 0xffff
	s_ashr_i32 s9, s8, 31
	v_mad_u64_u32 v[4:5], s[6:7], s2, v3, v[0:1]
	v_writelane_b32 v126, s8, 1
	v_readfirstlane_b32 s3, v2
	v_writelane_b32 v126, s9, 2
	v_cmp_gt_i64_e32 vcc, s[8:9], v[4:5]
	s_and_saveexec_b64 s[6:7], vcc
	s_cbranch_execz .LBB13_61
; %bb.1:
	s_load_dwordx4 s[8:11], s[4:5], 0xc
	s_load_dwordx2 s[6:7], s[4:5], 0x0
	s_ashr_i32 s12, s13, 31
	s_load_dwordx2 s[18:19], s[4:5], 0xa0
                                        ; kill: killed $sgpr4 killed $sgpr5
	s_load_dwordx4 s[24:27], s[4:5], 0x50
	s_waitcnt lgkmcnt(0)
	v_writelane_b32 v126, s6, 3
	v_writelane_b32 v126, s7, 4
	s_ashr_i32 s6, s8, 31
	v_writelane_b32 v126, s8, 5
	v_writelane_b32 v126, s9, 6
	v_writelane_b32 v126, s10, 7
	v_writelane_b32 v126, s11, 8
	v_readlane_b32 s11, v126, 0
	s_abs_i32 s7, s8
	s_sub_i32 s8, 0, s11
	s_mul_i32 s9, s8, s3
	s_mul_hi_u32 s9, s3, s9
	s_add_i32 s3, s3, s9
	s_mul_hi_u32 s3, s7, s3
	s_mul_i32 s9, s3, s11
	s_sub_i32 s7, s7, s9
	s_xor_b32 s6, s6, s12
	s_add_i32 s9, s3, 1
	s_sub_i32 s10, s7, s11
	s_cmp_ge_u32 s7, s11
	s_cselect_b32 s3, s9, s3
	s_cselect_b32 s7, s10, s7
	s_add_i32 s9, s3, 1
	s_cmp_ge_u32 s7, s11
	s_cselect_b32 s3, s9, s3
	s_xor_b32 s3, s3, s6
	s_sub_i32 s33, s3, s6
	s_load_dword s0, s[0:1], 0x0
	s_nop 0
	s_load_dwordx4 s[20:23], s[4:5], 0x90
	s_load_dword s3, s[4:5], 0x7c
	s_load_dwordx2 s[58:59], s[4:5], 0x1c
	s_load_dwordx2 s[6:7], s[4:5], 0x30
	v_writelane_b32 v126, s18, 9
	v_writelane_b32 v126, s19, 10
	;; [unrolled: 1-line block ×3, first 2 shown]
	s_waitcnt lgkmcnt(0)
	v_writelane_b32 v126, s3, 12
	s_abs_i32 s1, s16
	v_writelane_b32 v126, s6, 13
	v_cvt_f32_u32_e32 v0, s1
	v_writelane_b32 v126, s7, 14
	s_load_dwordx2 s[6:7], s[4:5], 0x60
	s_mul_i32 s0, s0, s2
	v_rcp_iflag_f32_e32 v0, v0
	s_abs_i32 s2, s15
	v_cvt_f32_u32_e32 v1, s2
	s_waitcnt lgkmcnt(0)
	v_writelane_b32 v126, s6, 15
	v_writelane_b32 v126, s7, 16
	;; [unrolled: 1-line block ×4, first 2 shown]
	v_mul_f32_e32 v0, 0x4f7ffffe, v0
	v_writelane_b32 v126, s26, 19
	v_cvt_u32_f32_e32 v0, v0
	v_writelane_b32 v126, s27, 20
	v_writelane_b32 v126, s0, 21
	s_ashr_i32 s0, s16, 31
	v_writelane_b32 v126, s0, 22
	s_sub_i32 s0, 0, s1
	v_mul_lo_u32 v3, s0, v0
	v_mul_hi_u32 v3, v0, v3
	v_writelane_b32 v126, s1, 23
	v_add_u32_e32 v0, v0, v3
	s_abs_i32 s1, s14
	buffer_store_dword v0, off, s[96:99], 0 offset:200 ; 4-byte Folded Spill
	v_cvt_f32_u32_e32 v0, s1
	v_rcp_iflag_f32_e32 v1, v1
	s_ashr_i32 s0, s15, 31
	v_writelane_b32 v126, s0, 24
	v_rcp_iflag_f32_e32 v0, v0
	v_mul_f32_e32 v1, 0x4f7ffffe, v1
	v_cvt_u32_f32_e32 v1, v1
	s_sub_i32 s0, 0, s2
	v_mul_f32_e32 v0, 0x4f7ffffe, v0
	v_cvt_u32_f32_e32 v0, v0
	v_mul_lo_u32 v3, s0, v1
	v_writelane_b32 v126, s2, 25
	v_mul_hi_u32 v3, v1, v3
	s_ashr_i32 s0, s14, 31
	v_add_u32_e32 v1, v1, v3
	v_writelane_b32 v126, s0, 26
	s_sub_i32 s0, 0, s1
	buffer_store_dword v1, off, s[96:99], 0 offset:204 ; 4-byte Folded Spill
	v_mul_lo_u32 v1, s0, v0
	s_abs_i32 s0, s20
	v_cvt_f32_u32_e32 v3, s0
	v_mul_hi_u32 v1, v0, v1
	v_add_u32_e32 v0, v0, v1
	buffer_store_dword v0, off, s[96:99], 0 offset:208 ; 4-byte Folded Spill
	v_rcp_iflag_f32_e32 v1, v3
	v_mul_lo_u32 v0, s8, v2
	v_mul_hi_u32 v0, v2, v0
	v_add_u32_e32 v0, v2, v0
	buffer_store_dword v0, off, s[96:99], 0 offset:212 ; 4-byte Folded Spill
	v_mul_f32_e32 v0, 0x4f7ffffe, v1
	v_cvt_u32_f32_e32 v0, v0
	v_writelane_b32 v126, s1, 27
	s_ashr_i32 s1, s20, 31
	v_writelane_b32 v126, s1, 28
	s_abs_i32 s1, s21
	v_writelane_b32 v126, s0, 29
	s_sub_i32 s0, 0, s0
	v_cvt_f32_u32_e32 v1, s1
	v_mul_lo_u32 v2, s0, v0
	v_mul_hi_u32 v2, v0, v2
	v_add_u32_e32 v0, v0, v2
	s_abs_i32 s2, s22
	buffer_store_dword v0, off, s[96:99], 0 offset:236 ; 4-byte Folded Spill
	v_cvt_f32_u32_e32 v0, s2
	v_rcp_iflag_f32_e32 v1, v1
	s_ashr_i32 s0, s21, 31
	v_writelane_b32 v126, s0, 30
	v_rcp_iflag_f32_e32 v0, v0
	v_mul_f32_e32 v1, 0x4f7ffffe, v1
	v_cvt_u32_f32_e32 v1, v1
	v_writelane_b32 v126, s1, 31
	v_mul_f32_e32 v0, 0x4f7ffffe, v0
	v_writelane_b32 v126, s20, 32
	s_sub_i32 s0, 0, s1
	v_cvt_u32_f32_e32 v0, v0
	v_writelane_b32 v126, s21, 33
	v_mul_lo_u32 v2, s0, v1
	v_writelane_b32 v126, s22, 34
	v_mul_hi_u32 v2, v1, v2
	v_writelane_b32 v126, s23, 35
	s_ashr_i32 s0, s22, 31
	v_add_u32_e32 v1, v1, v2
	v_writelane_b32 v126, s0, 36
	s_sub_i32 s0, 0, s2
	buffer_store_dword v1, off, s[96:99], 0 offset:240 ; 4-byte Folded Spill
	v_writelane_b32 v126, s2, 37
	v_mul_lo_u32 v1, s0, v0
	s_mul_i32 s0, s59, s33
	v_writelane_b32 v126, s0, 38
	v_writelane_b32 v126, s12, 39
	;; [unrolled: 1-line block ×7, first 2 shown]
	v_mul_hi_u32 v1, v0, v1
	v_writelane_b32 v126, s58, 45
	v_add_u32_e32 v0, v0, v1
	s_mov_b64 s[4:5], 0
	v_writelane_b32 v126, s59, 46
	buffer_store_dword v0, off, s[96:99], 0 offset:244 ; 4-byte Folded Spill
	s_branch .LBB13_4
.LBB13_2:                               ;   in Loop: Header=BB13_4 Depth=1
	buffer_load_dword v5, off, s[96:99], 0 offset:216 ; 4-byte Folded Reload
	buffer_load_dword v6, off, s[96:99], 0 offset:220 ; 4-byte Folded Reload
	;; [unrolled: 1-line block ×5, first 2 shown]
	v_readlane_b32 s12, v126, 39
	v_readlane_b32 s16, v126, 43
	;; [unrolled: 1-line block ×6, first 2 shown]
	s_mov_b32 s33, s56
.LBB13_3:                               ;   in Loop: Header=BB13_4 Depth=1
	v_readlane_b32 s0, v126, 49
	v_readlane_b32 s1, v126, 50
	s_or_b64 exec, exec, s[0:1]
	s_waitcnt vmcnt(0)
	v_mul_lo_u32 v0, v4, s17
	v_ashrrev_i32_e32 v1, 31, v0
	v_readlane_b32 s0, v126, 13
	v_lshlrev_b64 v[0:1], 3, v[0:1]
	v_readlane_b32 s1, v126, 14
	v_mov_b32_e32 v2, s1
	v_add_co_u32_e32 v3, vcc, s0, v0
	v_readlane_b32 s0, v126, 17
	v_mul_lo_u32 v0, s0, v60
	v_addc_co_u32_e32 v2, vcc, v2, v1, vcc
	v_ashrrev_i32_e32 v1, 31, v0
	v_readlane_b32 s1, v126, 18
	v_lshlrev_b64 v[0:1], 3, v[0:1]
	v_add_co_u32_e32 v3, vcc, v3, v0
	v_mul_lo_u32 v0, s1, v7
	v_addc_co_u32_e32 v2, vcc, v2, v1, vcc
	v_ashrrev_i32_e32 v1, 31, v0
	v_readlane_b32 s2, v126, 19
	v_lshlrev_b64 v[0:1], 3, v[0:1]
	v_add_co_u32_e32 v3, vcc, v3, v0
	;; [unrolled: 6-line block ×3, first 2 shown]
	v_mul_lo_u32 v0, s3, v5
	buffer_load_dword v4, off, s[96:99], 0 offset:192 ; 4-byte Folded Reload
	buffer_load_dword v5, off, s[96:99], 0 offset:196 ; 4-byte Folded Reload
	v_addc_co_u32_e32 v2, vcc, v2, v1, vcc
	v_ashrrev_i32_e32 v1, 31, v0
	v_lshlrev_b64 v[0:1], 3, v[0:1]
	v_add_co_u32_e32 v0, vcc, v3, v0
	s_mov_b32 s0, 0
	v_addc_co_u32_e32 v1, vcc, v2, v1, vcc
	v_mov_b32_e32 v2, s0
	v_readlane_b32 s0, v126, 21
	v_readlane_b32 s4, v126, 47
	;; [unrolled: 1-line block ×3, first 2 shown]
	global_store_dwordx2 v[0:1], v[62:63], off
	s_waitcnt vmcnt(2)
	v_add_co_u32_e32 v4, vcc, s0, v4
	v_readlane_b32 s0, v126, 1
	s_waitcnt vmcnt(1)
	v_addc_co_u32_e32 v5, vcc, v5, v2, vcc
	v_readlane_b32 s1, v126, 2
	v_cmp_le_i64_e32 vcc, s[0:1], v[4:5]
	s_or_b64 s[4:5], vcc, s[4:5]
	s_andn2_b64 exec, exec, s[4:5]
	s_cbranch_execz .LBB13_61
.LBB13_4:                               ; =>This Loop Header: Depth=1
                                        ;     Child Loop BB13_7 Depth 2
	buffer_load_dword v2, off, s[96:99], 0 offset:200 ; 4-byte Folded Reload
	v_writelane_b32 v126, s4, 47
	v_writelane_b32 v126, s5, 48
	v_sub_u32_e32 v1, 0, v4
	v_ashrrev_i32_e32 v0, 31, v4
	v_readlane_b32 s0, v126, 22
	v_max_i32_e32 v1, v4, v1
	v_xor_b32_e32 v0, s0, v0
	v_readlane_b32 s0, v126, 23
	buffer_store_dword v4, off, s[96:99], 0 offset:192 ; 4-byte Folded Spill
	s_nop 0
	buffer_store_dword v5, off, s[96:99], 0 offset:196 ; 4-byte Folded Spill
	v_pk_mov_b32 v[62:63], 0, 0
	s_waitcnt vmcnt(2)
	v_mul_hi_u32 v2, v1, v2
	v_mul_lo_u32 v3, v2, s0
	v_sub_u32_e32 v1, v1, v3
	v_add_u32_e32 v3, 1, v2
	v_cmp_le_u32_e32 vcc, s0, v1
	v_cndmask_b32_e32 v2, v2, v3, vcc
	v_subrev_u32_e32 v3, s0, v1
	v_cndmask_b32_e32 v1, v1, v3, vcc
	v_add_u32_e32 v3, 1, v2
	v_cmp_le_u32_e32 vcc, s0, v1
	v_cndmask_b32_e32 v1, v2, v3, vcc
	buffer_load_dword v3, off, s[96:99], 0 offset:204 ; 4-byte Folded Reload
	v_xor_b32_e32 v1, v1, v0
	v_sub_u32_e32 v0, v1, v0
	v_mul_lo_u32 v1, v0, s16
	v_sub_u32_e32 v2, 0, v0
	v_sub_u32_e32 v5, v4, v1
	v_ashrrev_i32_e32 v1, 31, v0
	v_readlane_b32 s0, v126, 24
	v_max_i32_e32 v2, v0, v2
	v_xor_b32_e32 v1, s0, v1
	v_readlane_b32 s0, v126, 25
	s_waitcnt vmcnt(0)
	v_mul_hi_u32 v3, v2, v3
	v_mul_lo_u32 v4, v3, s0
	v_sub_u32_e32 v2, v2, v4
	v_add_u32_e32 v4, 1, v3
	v_cmp_le_u32_e32 vcc, s0, v2
	v_cndmask_b32_e32 v3, v3, v4, vcc
	v_subrev_u32_e32 v4, s0, v2
	v_cndmask_b32_e32 v2, v2, v4, vcc
	v_add_u32_e32 v4, 1, v3
	v_cmp_le_u32_e32 vcc, s0, v2
	v_cndmask_b32_e32 v2, v3, v4, vcc
	buffer_load_dword v3, off, s[96:99], 0 offset:208 ; 4-byte Folded Reload
	v_xor_b32_e32 v2, v2, v1
	v_sub_u32_e32 v1, v2, v1
	v_mul_lo_u32 v2, v1, s15
	v_sub_u32_e32 v6, v0, v2
	v_sub_u32_e32 v2, 0, v1
	v_ashrrev_i32_e32 v0, 31, v1
	v_readlane_b32 s0, v126, 26
	v_max_i32_e32 v2, v1, v2
	v_xor_b32_e32 v0, s0, v0
	v_readlane_b32 s0, v126, 27
	;; [unrolled: 23-line block ×3, first 2 shown]
	s_waitcnt vmcnt(0)
	v_mul_hi_u32 v3, v2, v3
	v_mul_lo_u32 v4, v3, s0
	v_sub_u32_e32 v2, v2, v4
	v_add_u32_e32 v4, 1, v3
	v_cmp_le_u32_e32 vcc, s0, v2
	v_cndmask_b32_e32 v3, v3, v4, vcc
	v_subrev_u32_e32 v4, s0, v2
	v_cndmask_b32_e32 v2, v2, v4, vcc
	v_add_u32_e32 v4, 1, v3
	v_cmp_le_u32_e32 vcc, s0, v2
	v_cndmask_b32_e32 v2, v3, v4, vcc
	v_xor_b32_e32 v2, v2, v1
	v_sub_u32_e32 v4, v2, v1
	v_mul_lo_u32 v1, v4, s13
	v_sub_u32_e32 v60, v0, v1
	v_mul_lo_u32 v0, v60, s33
	v_add_u32_e32 v1, s33, v0
	v_cmp_lt_i32_e32 vcc, v0, v1
	s_mov_b64 s[0:1], exec
	v_writelane_b32 v126, s0, 49
	v_writelane_b32 v126, s1, 50
	s_and_b64 s[0:1], s[0:1], vcc
	s_mov_b64 exec, s[0:1]
	s_cbranch_execz .LBB13_3
; %bb.5:                                ;   in Loop: Header=BB13_4 Depth=1
	buffer_load_dword v17, off, s[96:99], 0 offset:236 ; 4-byte Folded Reload
	buffer_load_dword v12, off, s[96:99], 0 offset:240 ; 4-byte Folded Reload
	;; [unrolled: 1-line block ×3, first 2 shown]
	v_readlane_b32 s0, v126, 9
	v_add_u32_e32 v9, s0, v6
	v_readlane_b32 s0, v126, 12
	v_readlane_b32 s1, v126, 10
	v_mul_lo_u32 v2, s0, v0
	v_add_u32_e32 v1, s1, v5
	v_ashrrev_i32_e32 v3, 31, v2
	v_readlane_b32 s0, v126, 15
	v_lshlrev_b64 v[2:3], 3, v[2:3]
	v_readlane_b32 s1, v126, 16
	buffer_store_dword v4, off, s[96:99], 0 offset:232 ; 4-byte Folded Spill
	v_mul_lo_u32 v4, s58, v4
	v_readlane_b32 s44, v126, 32
	buffer_store_dword v5, off, s[96:99], 0 offset:216 ; 4-byte Folded Spill
	v_mov_b32_e32 v0, s1
	v_add_co_u32_e32 v2, vcc, s0, v2
	v_ashrrev_i32_e32 v5, 31, v4
	v_readlane_b32 s47, v126, 35
	v_addc_co_u32_e32 v3, vcc, v0, v3, vcc
	v_lshlrev_b64 v[4:5], 3, v[4:5]
	v_readlane_b32 s0, v126, 3
	v_add_u32_e32 v8, s47, v7
	v_add_co_u32_e32 v4, vcc, s0, v4
	v_readlane_b32 s1, v126, 4
	buffer_store_dword v4, off, s[96:99], 0 ; 4-byte Folded Spill
	v_sub_u32_e32 v4, 0, v8
	v_mov_b32_e32 v0, s1
	v_max_i32_e32 v4, v8, v4
	v_addc_co_u32_e32 v0, vcc, v0, v5, vcc
	v_readlane_b32 s0, v126, 29
	buffer_store_dword v6, off, s[96:99], 0 offset:220 ; 4-byte Folded Spill
	buffer_store_dword v0, off, s[96:99], 0 offset:4 ; 4-byte Folded Spill
	v_ashrrev_i32_e32 v0, 31, v8
	v_readlane_b32 s20, v126, 28
	v_xor_b32_e32 v0, s20, v0
	v_readlane_b32 s1, v126, 31
	buffer_store_dword v7, off, s[96:99], 0 offset:224 ; 4-byte Folded Spill
	v_readlane_b32 s8, v126, 37
	v_add_u32_e32 v13, -2, v9
	v_readlane_b32 s4, v126, 30
	v_add_u32_e32 v15, -1, v9
	;; [unrolled: 2-line block ×3, first 2 shown]
	v_add_u32_e32 v18, -1, v8
	v_readlane_b32 s56, v126, 5
	v_readlane_b32 s59, v126, 8
	;; [unrolled: 1-line block ×6, first 2 shown]
	v_sub_u32_e32 v23, 2, v1
                                        ; implicit-def: $vgpr127 : SGPR spill to VGPR lane
	buffer_store_dword v60, off, s[96:99], 0 offset:228 ; 4-byte Folded Spill
	s_waitcnt vmcnt(9)
	v_mul_hi_u32 v5, v4, v17
	v_mul_lo_u32 v6, v5, s0
	v_sub_u32_e32 v4, v4, v6
	v_add_u32_e32 v6, 1, v5
	v_cmp_le_u32_e32 vcc, s0, v4
	v_cndmask_b32_e32 v5, v5, v6, vcc
	v_subrev_u32_e32 v6, s0, v4
	v_cndmask_b32_e32 v4, v4, v6, vcc
	v_add_u32_e32 v6, 1, v5
	v_cmp_le_u32_e32 vcc, s0, v4
	v_cndmask_b32_e32 v4, v5, v6, vcc
	v_xor_b32_e32 v4, v4, v0
	v_sub_u32_e32 v5, v4, v0
	v_sub_u32_e32 v4, 0, v9
	v_max_i32_e32 v4, v9, v4
	s_waitcnt vmcnt(8)
	v_mul_hi_u32 v6, v4, v12
	v_mul_lo_u32 v7, v6, s1
	v_sub_u32_e32 v4, v4, v7
	v_add_u32_e32 v7, 1, v6
	v_cmp_le_u32_e32 vcc, s1, v4
	v_cndmask_b32_e32 v6, v6, v7, vcc
	v_subrev_u32_e32 v7, s1, v4
	v_cndmask_b32_e32 v4, v4, v7, vcc
	v_add_u32_e32 v7, 1, v6
	v_cmp_le_u32_e32 vcc, s1, v4
	v_cndmask_b32_e32 v4, v6, v7, vcc
	v_sub_u32_e32 v6, 0, v1
	v_max_i32_e32 v6, v1, v6
	s_waitcnt vmcnt(7)
	v_mul_hi_u32 v7, v6, v29
	v_mul_lo_u32 v10, v7, s8
	v_sub_u32_e32 v6, v6, v10
	v_add_u32_e32 v10, 1, v7
	v_cmp_le_u32_e32 vcc, s8, v6
	v_cndmask_b32_e32 v7, v7, v10, vcc
	v_subrev_u32_e32 v10, s8, v6
	v_cndmask_b32_e32 v6, v6, v10, vcc
	v_add_u32_e32 v10, 1, v7
	v_cmp_le_u32_e32 vcc, s8, v6
	v_cndmask_b32_e32 v6, v7, v10, vcc
	v_sub_u32_e32 v7, 2, v9
	v_max_i32_e32 v7, v13, v7
	v_mul_hi_u32 v10, v7, v12
	v_mul_lo_u32 v11, v10, s1
	v_sub_u32_e32 v7, v7, v11
	v_add_u32_e32 v11, 1, v10
	v_cmp_le_u32_e32 vcc, s1, v7
	v_cndmask_b32_e32 v10, v10, v11, vcc
	v_subrev_u32_e32 v11, s1, v7
	v_cndmask_b32_e32 v7, v7, v11, vcc
	v_ashrrev_i32_e32 v0, 31, v9
	v_add_u32_e32 v11, 1, v10
	v_cmp_le_u32_e32 vcc, s1, v7
	v_xor_b32_e32 v0, s4, v0
	v_cndmask_b32_e32 v7, v10, v11, vcc
	v_sub_u32_e32 v10, 1, v9
	v_xor_b32_e32 v4, v4, v0
	v_max_i32_e32 v10, v15, v10
	v_sub_u32_e32 v0, v4, v0
	v_ashrrev_i32_e32 v4, 31, v1
	v_mul_hi_u32 v11, v10, v12
	v_xor_b32_e32 v4, s9, v4
	v_mul_lo_u32 v12, v11, s1
	v_xor_b32_e32 v6, v6, v4
	v_sub_u32_e32 v10, v10, v12
	v_sub_u32_e32 v4, v6, v4
	v_ashrrev_i32_e32 v6, 31, v13
	v_add_u32_e32 v12, 1, v11
	v_cmp_le_u32_e32 vcc, s1, v10
	v_xor_b32_e32 v6, s4, v6
	v_cndmask_b32_e32 v11, v11, v12, vcc
	v_subrev_u32_e32 v12, s1, v10
	v_xor_b32_e32 v7, v7, v6
	v_cndmask_b32_e32 v10, v10, v12, vcc
	v_sub_u32_e32 v6, v7, v6
	v_ashrrev_i32_e32 v7, 31, v15
	v_add_u32_e32 v12, 1, v11
	v_cmp_le_u32_e32 vcc, s1, v10
	v_xor_b32_e32 v7, s4, v7
	v_cndmask_b32_e32 v10, v11, v12, vcc
	v_xor_b32_e32 v10, v10, v7
	v_sub_u32_e32 v7, v10, v7
	v_sub_u32_e32 v10, 0, v16
	v_max_i32_e32 v10, v16, v10
	v_mul_hi_u32 v11, v10, v17
	v_mul_lo_u32 v12, v11, s0
	v_sub_u32_e32 v10, v10, v12
	v_add_u32_e32 v12, 1, v11
	v_cmp_le_u32_e32 vcc, s0, v10
	v_cndmask_b32_e32 v11, v11, v12, vcc
	v_subrev_u32_e32 v12, s0, v10
	v_cndmask_b32_e32 v10, v10, v12, vcc
	v_add_u32_e32 v12, 1, v11
	v_cmp_le_u32_e32 vcc, s0, v10
	v_cndmask_b32_e32 v24, v11, v12, vcc
	v_sub_u32_e32 v11, 0, v18
	v_max_i32_e32 v11, v18, v11
	v_mul_hi_u32 v12, v11, v17
	v_mul_lo_u32 v17, v12, s0
	v_sub_u32_e32 v11, v11, v17
	v_add_u32_e32 v17, 1, v12
	v_cmp_le_u32_e32 vcc, s0, v11
	v_cndmask_b32_e32 v12, v12, v17, vcc
	v_subrev_u32_e32 v17, s0, v11
	v_cndmask_b32_e32 v11, v11, v17, vcc
	v_ashrrev_i32_e32 v10, 31, v18
	v_add_u32_e32 v17, 1, v12
	v_cmp_le_u32_e32 vcc, s0, v11
	v_xor_b32_e32 v10, s20, v10
	v_cndmask_b32_e32 v11, v12, v17, vcc
	v_or_b32_e32 v22, v4, v0
	v_xor_b32_e32 v11, v11, v10
	v_sub_u32_e32 v11, v11, v10
	v_or_b32_e32 v10, v22, v5
	v_cmp_lt_i32_e64 s[0:1], -1, v10
	v_cmp_gt_i32_e32 vcc, s59, v4
	v_add_u32_e32 v17, -1, v1
	v_sub_u32_e32 v12, 1, v1
	v_cmp_gt_i32_e64 s[2:3], s58, v0
	s_and_b64 s[0:1], vcc, s[0:1]
	v_max_i32_e32 v12, v17, v12
	v_cmp_gt_i32_e64 s[6:7], s57, v5
	s_and_b64 s[0:1], s[0:1], s[2:3]
	v_mul_hi_u32 v19, v12, v29
	s_and_b64 s[0:1], s[0:1], s[6:7]
	v_mul_lo_u32 v21, v19, s8
	v_writelane_b32 v126, s0, 51
	v_sub_u32_e32 v12, v12, v21
	v_writelane_b32 v126, s1, 52
	v_add_u32_e32 v21, 1, v19
	v_cmp_le_u32_e64 s[0:1], s8, v12
	v_cndmask_b32_e64 v19, v19, v21, s[0:1]
	v_subrev_u32_e32 v21, s8, v12
	v_cndmask_b32_e64 v12, v12, v21, s[0:1]
	v_ashrrev_i32_e32 v10, 31, v17
	v_add_u32_e32 v21, 1, v19
	v_cmp_le_u32_e64 s[0:1], s8, v12
	v_xor_b32_e32 v10, s9, v10
	v_cndmask_b32_e64 v12, v19, v21, s[0:1]
	v_xor_b32_e32 v12, v12, v10
	v_sub_u32_e32 v10, v12, v10
	v_or_b32_e32 v26, v10, v0
	v_or_b32_e32 v12, v26, v5
	v_cmp_lt_i32_e64 s[4:5], -1, v12
	v_cmp_gt_i32_e64 s[0:1], s59, v10
	v_add_u32_e32 v19, -2, v1
	s_and_b64 s[4:5], s[0:1], s[4:5]
	v_max_i32_e32 v23, v19, v23
	s_and_b64 s[4:5], s[4:5], s[2:3]
	v_mul_hi_u32 v29, v23, v29
	s_and_b64 s[4:5], s[4:5], s[6:7]
	v_mul_lo_u32 v30, v29, s8
	v_writelane_b32 v126, s4, 53
	v_sub_u32_e32 v23, v23, v30
	v_writelane_b32 v126, s5, 54
	v_add_u32_e32 v30, 1, v29
	v_cmp_le_u32_e64 s[4:5], s8, v23
	v_cndmask_b32_e64 v29, v29, v30, s[4:5]
	v_subrev_u32_e32 v30, s8, v23
	v_cndmask_b32_e64 v23, v23, v30, s[4:5]
	v_ashrrev_i32_e32 v12, 31, v19
	v_add_u32_e32 v30, 1, v29
	v_cmp_le_u32_e64 s[4:5], s8, v23
	v_xor_b32_e32 v12, s9, v12
	v_cndmask_b32_e64 v23, v29, v30, s[4:5]
	v_xor_b32_e32 v23, v23, v12
	v_sub_u32_e32 v12, v23, v12
	v_or_b32_e32 v30, v12, v0
	v_or_b32_e32 v32, v30, v5
	v_cmp_lt_i32_e64 s[8:9], -1, v32
	v_cmp_gt_i32_e64 s[4:5], s59, v12
	s_and_b64 s[8:9], s[4:5], s[8:9]
	s_and_b64 s[8:9], s[8:9], s[2:3]
	v_or_b32_e32 v20, v4, v7
	s_and_b64 s[8:9], s[8:9], s[6:7]
	v_writelane_b32 v126, s8, 55
	v_or_b32_e32 v33, v20, v5
	v_writelane_b32 v126, s9, 56
	v_cmp_lt_i32_e64 s[8:9], -1, v33
	v_cmp_gt_i32_e64 s[10:11], s58, v7
	s_and_b64 s[8:9], vcc, s[8:9]
	s_and_b64 s[8:9], s[8:9], s[10:11]
	v_or_b32_e32 v25, v10, v7
	s_and_b64 s[8:9], s[8:9], s[6:7]
	v_writelane_b32 v126, s8, 57
	v_or_b32_e32 v34, v25, v5
	v_writelane_b32 v126, s9, 58
	v_cmp_lt_i32_e64 s[8:9], -1, v34
	s_and_b64 s[8:9], s[0:1], s[8:9]
	s_and_b64 s[8:9], s[8:9], s[10:11]
	v_or_b32_e32 v29, v12, v7
	s_and_b64 s[8:9], s[8:9], s[6:7]
	v_writelane_b32 v126, s8, 59
	v_or_b32_e32 v35, v29, v5
	v_writelane_b32 v126, s9, 60
	v_cmp_lt_i32_e64 s[8:9], -1, v35
	s_and_b64 s[8:9], s[4:5], s[8:9]
	v_or_b32_e32 v14, v4, v6
	s_and_b64 s[8:9], s[8:9], s[10:11]
	s_and_b64 s[8:9], s[8:9], s[6:7]
	v_or_b32_e32 v36, v14, v5
	v_writelane_b32 v126, s8, 61
	v_cmp_lt_i32_e64 s[12:13], -1, v36
	v_writelane_b32 v126, s9, 62
	v_cmp_gt_i32_e64 s[8:9], s58, v6
	s_and_b64 s[12:13], vcc, s[12:13]
	s_and_b64 s[12:13], s[12:13], s[8:9]
	v_or_b32_e32 v21, v10, v6
	s_and_b64 s[12:13], s[12:13], s[6:7]
	v_writelane_b32 v126, s12, 63
	v_or_b32_e32 v37, v21, v5
	v_writelane_b32 v127, s13, 0
	v_cmp_lt_i32_e64 s[12:13], -1, v37
	s_and_b64 s[12:13], s[0:1], s[12:13]
	s_and_b64 s[12:13], s[12:13], s[8:9]
	v_or_b32_e32 v23, v12, v6
	s_and_b64 s[12:13], s[12:13], s[6:7]
	v_writelane_b32 v127, s12, 1
	v_or_b32_e32 v38, v23, v5
	v_writelane_b32 v127, s13, 2
	v_cmp_lt_i32_e64 s[12:13], -1, v38
	s_and_b64 s[12:13], s[4:5], s[12:13]
	s_and_b64 s[12:13], s[12:13], s[8:9]
	v_or_b32_e32 v27, v22, v11
	s_and_b64 s[6:7], s[12:13], s[6:7]
	v_writelane_b32 v127, s6, 3
	v_cmp_lt_i32_e64 s[12:13], -1, v27
	s_and_b64 s[14:15], vcc, s[2:3]
	v_or_b32_e32 v28, v26, v11
	v_writelane_b32 v127, s7, 4
	v_cmp_gt_i32_e64 s[6:7], s57, v11
	s_and_b64 s[12:13], s[14:15], s[12:13]
	s_and_b64 s[74:75], s[12:13], s[6:7]
	v_cmp_lt_i32_e64 s[12:13], -1, v28
	s_and_b64 s[16:17], s[0:1], s[2:3]
	s_and_b64 s[12:13], s[16:17], s[12:13]
	;; [unrolled: 1-line block ×3, first 2 shown]
	v_or_b32_e32 v31, v30, v11
	v_writelane_b32 v127, s12, 5
	v_writelane_b32 v127, s13, 6
	v_cmp_lt_i32_e64 s[12:13], -1, v31
	s_and_b64 s[18:19], s[4:5], s[2:3]
	v_or_b32_e32 v32, v20, v11
	s_and_b64 s[2:3], s[18:19], s[12:13]
	s_and_b64 s[68:69], s[2:3], s[6:7]
	v_cmp_lt_i32_e64 s[2:3], -1, v32
	s_and_b64 s[2:3], vcc, s[2:3]
	v_or_b32_e32 v33, v25, v11
	s_and_b64 s[2:3], s[2:3], s[10:11]
	s_and_b64 s[70:71], s[2:3], s[6:7]
	v_cmp_lt_i32_e64 s[2:3], -1, v33
	s_and_b64 s[2:3], s[0:1], s[2:3]
	v_or_b32_e32 v34, v29, v11
	s_and_b64 s[2:3], s[2:3], s[10:11]
	s_and_b64 s[64:65], s[2:3], s[6:7]
	v_cmp_lt_i32_e64 s[2:3], -1, v34
	s_and_b64 s[2:3], s[4:5], s[2:3]
	v_or_b32_e32 v35, v14, v11
	s_and_b64 s[2:3], s[2:3], s[10:11]
	s_and_b64 s[66:67], s[2:3], s[6:7]
	v_cmp_lt_i32_e64 s[2:3], -1, v35
	s_and_b64 s[2:3], vcc, s[2:3]
	v_or_b32_e32 v36, v21, v11
	s_and_b64 s[2:3], s[2:3], s[8:9]
	s_and_b64 s[88:89], s[2:3], s[6:7]
	v_cmp_lt_i32_e64 s[2:3], -1, v36
	s_and_b64 s[2:3], s[0:1], s[2:3]
	v_ashrrev_i32_e32 v27, 31, v16
	v_or_b32_e32 v37, v23, v11
	s_and_b64 s[2:3], s[2:3], s[8:9]
	v_xor_b32_e32 v27, s20, v27
	s_and_b64 s[60:61], s[2:3], s[6:7]
	v_cmp_lt_i32_e64 s[2:3], -1, v37
	v_xor_b32_e32 v24, v24, v27
	s_and_b64 s[2:3], s[4:5], s[2:3]
	v_sub_u32_e32 v48, v24, v27
	s_and_b64 s[2:3], s[2:3], s[8:9]
	v_or_b32_e32 v22, v22, v48
	s_and_b64 s[62:63], s[2:3], s[6:7]
	v_cmp_lt_i32_e64 s[2:3], -1, v22
	v_or_b32_e32 v22, v26, v48
	s_and_b64 s[14:15], s[14:15], s[2:3]
	v_cmp_lt_i32_e64 s[2:3], -1, v22
	v_or_b32_e32 v22, v30, v48
	s_and_b64 s[16:17], s[16:17], s[2:3]
	v_cmp_lt_i32_e64 s[2:3], -1, v22
	v_or_b32_e32 v20, v20, v48
	s_and_b64 s[18:19], s[18:19], s[2:3]
	v_cmp_lt_i32_e64 s[2:3], -1, v20
	v_or_b32_e32 v22, v25, v48
	s_and_b64 s[2:3], vcc, s[2:3]
	s_and_b64 s[20:21], s[2:3], s[10:11]
	v_cmp_lt_i32_e64 s[2:3], -1, v22
	v_or_b32_e32 v24, v29, v48
	s_and_b64 s[2:3], s[0:1], s[2:3]
	s_and_b64 s[22:23], s[2:3], s[10:11]
	v_cmp_lt_i32_e64 s[2:3], -1, v24
	s_and_b64 s[2:3], s[4:5], s[2:3]
	v_mul_lo_u32 v20, v5, s44
	v_mul_lo_u32 v22, v0, s45
	;; [unrolled: 1-line block ×4, first 2 shown]
	s_and_b64 s[24:25], s[2:3], s[10:11]
	v_cmp_eq_u32_e64 s[2:3], v20, v8
	v_cmp_eq_u32_e64 s[6:7], v22, v9
	;; [unrolled: 1-line block ×4, first 2 shown]
	v_mul_lo_u32 v8, v11, s44
	s_and_b64 s[26:27], s[2:3], s[6:7]
	s_and_b64 s[28:29], s[2:3], s[10:11]
	;; [unrolled: 1-line block ×3, first 2 shown]
	v_cmp_eq_u32_e64 s[2:3], v8, v18
	v_mul_lo_u32 v8, v48, s44
	s_and_b64 s[34:35], s[2:3], s[6:7]
	s_and_b64 s[36:37], s[2:3], s[10:11]
	;; [unrolled: 1-line block ×3, first 2 shown]
	v_cmp_eq_u32_e64 s[2:3], v8, v16
	v_or_b32_e32 v8, v14, v48
	s_and_b64 s[42:43], s[2:3], s[6:7]
	s_and_b64 s[48:49], s[2:3], s[10:11]
	;; [unrolled: 1-line block ×3, first 2 shown]
	v_cmp_lt_i32_e64 s[2:3], -1, v8
	v_or_b32_e32 v8, v21, v48
	s_and_b64 s[2:3], vcc, s[2:3]
	v_cmp_lt_i32_e32 vcc, -1, v8
	v_or_b32_e32 v8, v23, v48
	s_and_b64 s[0:1], s[0:1], vcc
	v_cmp_lt_i32_e32 vcc, -1, v8
	s_and_b64 s[4:5], s[4:5], vcc
	s_and_b64 s[2:3], s[2:3], s[8:9]
	s_and_b64 s[0:1], s[0:1], s[8:9]
	;; [unrolled: 1-line block ×3, first 2 shown]
	v_cmp_gt_i32_e32 vcc, s57, v48
	v_mul_lo_u32 v8, v4, s46
	s_and_b64 s[86:87], s[14:15], vcc
	s_and_b64 s[80:81], s[16:17], vcc
	;; [unrolled: 1-line block ×9, first 2 shown]
	v_cmp_eq_u32_e32 vcc, v8, v1
	v_mul_lo_u32 v1, v5, s58
	v_add_u32_e32 v5, v0, v1
	v_mul_lo_u32 v5, v5, s59
	v_mul_lo_u32 v9, v10, s46
	v_add_u32_e32 v8, v4, v5
	v_cmp_eq_u32_e64 s[52:53], v9, v17
	v_ashrrev_i32_e32 v9, 31, v8
	v_add_u32_e32 v14, v10, v5
	v_lshlrev_b64 v[8:9], 3, v[8:9]
	v_ashrrev_i32_e32 v15, 31, v14
	buffer_store_dword v8, off, s[96:99], 0 offset:8 ; 4-byte Folded Spill
	s_nop 0
	buffer_store_dword v9, off, s[96:99], 0 offset:12 ; 4-byte Folded Spill
	v_add_u32_e32 v16, v12, v5
	v_add_u32_e32 v5, v7, v1
	v_lshlrev_b64 v[8:9], 3, v[14:15]
	v_ashrrev_i32_e32 v17, 31, v16
	v_mul_lo_u32 v5, v5, s59
	buffer_store_dword v8, off, s[96:99], 0 offset:16 ; 4-byte Folded Spill
	s_nop 0
	buffer_store_dword v9, off, s[96:99], 0 offset:20 ; 4-byte Folded Spill
	v_mul_lo_u32 v13, v12, s46
	v_add_u32_e32 v18, v4, v5
	v_lshlrev_b64 v[8:9], 3, v[16:17]
	v_cmp_eq_u32_e64 s[54:55], v13, v19
	v_ashrrev_i32_e32 v19, 31, v18
	buffer_store_dword v8, off, s[96:99], 0 offset:24 ; 4-byte Folded Spill
	s_nop 0
	buffer_store_dword v9, off, s[96:99], 0 offset:28 ; 4-byte Folded Spill
	v_add_u32_e32 v20, v10, v5
	v_lshlrev_b64 v[8:9], 3, v[18:19]
	v_ashrrev_i32_e32 v21, 31, v20
	buffer_store_dword v8, off, s[96:99], 0 offset:32 ; 4-byte Folded Spill
	s_nop 0
	buffer_store_dword v9, off, s[96:99], 0 offset:36 ; 4-byte Folded Spill
	v_add_u32_e32 v22, v12, v5
	v_add_u32_e32 v1, v6, v1
	v_lshlrev_b64 v[8:9], 3, v[20:21]
	v_ashrrev_i32_e32 v23, 31, v22
	v_mul_lo_u32 v1, v1, s59
	buffer_store_dword v8, off, s[96:99], 0 offset:40 ; 4-byte Folded Spill
	s_nop 0
	buffer_store_dword v9, off, s[96:99], 0 offset:44 ; 4-byte Folded Spill
	v_add_u32_e32 v24, v4, v1
	v_lshlrev_b64 v[8:9], 3, v[22:23]
	v_ashrrev_i32_e32 v25, 31, v24
	buffer_store_dword v8, off, s[96:99], 0 offset:48 ; 4-byte Folded Spill
	s_nop 0
	buffer_store_dword v9, off, s[96:99], 0 offset:52 ; 4-byte Folded Spill
	v_add_u32_e32 v26, v10, v1
	v_lshlrev_b64 v[8:9], 3, v[24:25]
	v_ashrrev_i32_e32 v27, 31, v26
	v_add_u32_e32 v28, v12, v1
	v_mul_lo_u32 v1, v11, s58
	buffer_store_dword v8, off, s[96:99], 0 offset:56 ; 4-byte Folded Spill
	s_nop 0
	buffer_store_dword v9, off, s[96:99], 0 offset:60 ; 4-byte Folded Spill
	v_add_u32_e32 v5, v0, v1
	v_lshlrev_b64 v[8:9], 3, v[26:27]
	v_ashrrev_i32_e32 v29, 31, v28
	v_mul_lo_u32 v5, v5, s59
	buffer_store_dword v8, off, s[96:99], 0 offset:64 ; 4-byte Folded Spill
	s_nop 0
	buffer_store_dword v9, off, s[96:99], 0 offset:68 ; 4-byte Folded Spill
	v_add_u32_e32 v30, v4, v5
	v_lshlrev_b64 v[8:9], 3, v[28:29]
	v_ashrrev_i32_e32 v31, 31, v30
	buffer_store_dword v8, off, s[96:99], 0 offset:72 ; 4-byte Folded Spill
	s_nop 0
	buffer_store_dword v9, off, s[96:99], 0 offset:76 ; 4-byte Folded Spill
	v_add_u32_e32 v32, v10, v5
	v_lshlrev_b64 v[8:9], 3, v[30:31]
	v_ashrrev_i32_e32 v33, 31, v32
	buffer_store_dword v8, off, s[96:99], 0 offset:80 ; 4-byte Folded Spill
	s_nop 0
	buffer_store_dword v9, off, s[96:99], 0 offset:84 ; 4-byte Folded Spill
	v_add_u32_e32 v34, v12, v5
	v_add_u32_e32 v5, v7, v1
	v_lshlrev_b64 v[8:9], 3, v[32:33]
	v_ashrrev_i32_e32 v35, 31, v34
	v_mul_lo_u32 v5, v5, s59
	buffer_store_dword v8, off, s[96:99], 0 offset:88 ; 4-byte Folded Spill
	s_nop 0
	buffer_store_dword v9, off, s[96:99], 0 offset:92 ; 4-byte Folded Spill
	v_add_u32_e32 v36, v4, v5
	v_lshlrev_b64 v[8:9], 3, v[34:35]
	v_ashrrev_i32_e32 v37, 31, v36
	buffer_store_dword v8, off, s[96:99], 0 offset:96 ; 4-byte Folded Spill
	s_nop 0
	buffer_store_dword v9, off, s[96:99], 0 offset:100 ; 4-byte Folded Spill
	v_add_u32_e32 v38, v10, v5
	v_lshlrev_b64 v[8:9], 3, v[36:37]
	v_ashrrev_i32_e32 v39, 31, v38
	buffer_store_dword v8, off, s[96:99], 0 offset:104 ; 4-byte Folded Spill
	s_nop 0
	buffer_store_dword v9, off, s[96:99], 0 offset:108 ; 4-byte Folded Spill
	v_add_u32_e32 v40, v12, v5
	v_add_u32_e32 v1, v6, v1
	v_lshlrev_b64 v[8:9], 3, v[38:39]
	v_ashrrev_i32_e32 v41, 31, v40
	v_mul_lo_u32 v1, v1, s59
	buffer_store_dword v8, off, s[96:99], 0 offset:112 ; 4-byte Folded Spill
	s_nop 0
	buffer_store_dword v9, off, s[96:99], 0 offset:116 ; 4-byte Folded Spill
	v_add_u32_e32 v42, v4, v1
	v_lshlrev_b64 v[8:9], 3, v[40:41]
	v_ashrrev_i32_e32 v43, 31, v42
	v_mul_lo_u32 v5, v48, s58
	buffer_store_dword v8, off, s[96:99], 0 offset:120 ; 4-byte Folded Spill
	s_nop 0
	buffer_store_dword v9, off, s[96:99], 0 offset:124 ; 4-byte Folded Spill
	v_add_u32_e32 v44, v10, v1
	v_add_u32_e32 v0, v0, v5
	v_lshlrev_b64 v[8:9], 3, v[42:43]
	v_ashrrev_i32_e32 v45, 31, v44
	v_mul_lo_u32 v11, v0, s59
	buffer_store_dword v8, off, s[96:99], 0 offset:128 ; 4-byte Folded Spill
	s_nop 0
	buffer_store_dword v9, off, s[96:99], 0 offset:132 ; 4-byte Folded Spill
	v_add_u32_e32 v46, v12, v1
	v_add_u32_e32 v0, v4, v11
	v_lshlrev_b64 v[8:9], 3, v[44:45]
	v_ashrrev_i32_e32 v47, 31, v46
	v_ashrrev_i32_e32 v1, 31, v0
	buffer_store_dword v8, off, s[96:99], 0 offset:136 ; 4-byte Folded Spill
	s_nop 0
	buffer_store_dword v9, off, s[96:99], 0 offset:140 ; 4-byte Folded Spill
	v_add_u32_e32 v48, v10, v11
	v_lshlrev_b64 v[8:9], 3, v[46:47]
	v_lshlrev_b64 v[0:1], 3, v[0:1]
	v_ashrrev_i32_e32 v49, 31, v48
	buffer_store_dword v8, off, s[96:99], 0 offset:144 ; 4-byte Folded Spill
	s_nop 0
	buffer_store_dword v9, off, s[96:99], 0 offset:148 ; 4-byte Folded Spill
	buffer_store_dword v0, off, s[96:99], 0 offset:152 ; 4-byte Folded Spill
	s_nop 0
	buffer_store_dword v1, off, s[96:99], 0 offset:156 ; 4-byte Folded Spill
	v_add_u32_e32 v50, v12, v11
	v_add_u32_e32 v7, v7, v5
	v_lshlrev_b64 v[0:1], 3, v[48:49]
	v_ashrrev_i32_e32 v51, 31, v50
	v_mul_lo_u32 v7, v7, s59
	buffer_store_dword v0, off, s[96:99], 0 offset:160 ; 4-byte Folded Spill
	s_nop 0
	buffer_store_dword v1, off, s[96:99], 0 offset:164 ; 4-byte Folded Spill
	v_add_u32_e32 v52, v4, v7
	v_add_u32_e32 v5, v6, v5
	v_lshlrev_b64 v[0:1], 3, v[50:51]
	v_ashrrev_i32_e32 v53, 31, v52
	v_mul_lo_u32 v5, v5, s59
	buffer_store_dword v0, off, s[96:99], 0 offset:168 ; 4-byte Folded Spill
	s_nop 0
	buffer_store_dword v1, off, s[96:99], 0 offset:172 ; 4-byte Folded Spill
	v_add_u32_e32 v54, v10, v7
	v_add_u32_e32 v56, v12, v7
	;; [unrolled: 1-line block ×5, first 2 shown]
	v_lshlrev_b64 v[0:1], 3, v[52:53]
	v_ashrrev_i32_e32 v55, 31, v54
	v_ashrrev_i32_e32 v57, 31, v56
	v_readlane_b32 s58, v126, 45
	v_ashrrev_i32_e32 v59, 31, v58
	v_ashrrev_i32_e32 v11, 31, v10
	;; [unrolled: 1-line block ×3, first 2 shown]
	v_readlane_b32 s56, v126, 38
	v_pk_mov_b32 v[6:7], 0, 0
	buffer_store_dword v0, off, s[96:99], 0 offset:176 ; 4-byte Folded Spill
	s_nop 0
	buffer_store_dword v1, off, s[96:99], 0 offset:180 ; 4-byte Folded Spill
	s_and_b64 s[0:1], s[26:27], vcc
	s_and_b64 s[2:3], s[26:27], s[52:53]
	s_and_b64 s[4:5], s[26:27], s[54:55]
	s_and_b64 s[6:7], s[28:29], vcc
	s_and_b64 s[8:9], s[28:29], s[52:53]
	s_and_b64 s[10:11], s[28:29], s[54:55]
	;; [unrolled: 3-line block ×9, first 2 shown]
	v_readlane_b32 s59, v126, 46
	v_mul_lo_u32 v4, s56, v60
	v_lshlrev_b64 v[0:1], 3, v[54:55]
	v_lshlrev_b64 v[54:55], 3, v[56:57]
	;; [unrolled: 1-line block ×5, first 2 shown]
	v_pk_mov_b32 v[62:63], v[6:7], v[6:7] op_sel:[0,1]
	s_mov_b32 s56, s33
	buffer_store_dword v0, off, s[96:99], 0 offset:184 ; 4-byte Folded Spill
	s_nop 0
	buffer_store_dword v1, off, s[96:99], 0 offset:188 ; 4-byte Folded Spill
	s_branch .LBB13_7
.LBB13_6:                               ;   in Loop: Header=BB13_7 Depth=2
	s_or_b64 exec, exec, s[72:73]
	s_waitcnt vmcnt(26)
	v_fma_f64 v[52:53], v[64:65], v[66:67], v[62:63]
	v_cndmask_b32_e64 v53, v63, v53, s[0:1]
	v_cndmask_b32_e64 v52, v62, v52, s[0:1]
	v_pk_mov_b32 v[62:63], v[52:53], v[52:53] op_sel:[0,1]
	s_waitcnt vmcnt(25)
	v_fmac_f64_e32 v[62:63], v[68:69], v[72:73]
	v_cndmask_b32_e64 v53, v53, v63, s[2:3]
	v_cndmask_b32_e64 v52, v52, v62, s[2:3]
	v_pk_mov_b32 v[62:63], v[52:53], v[52:53] op_sel:[0,1]
	s_waitcnt vmcnt(24)
	v_fmac_f64_e32 v[62:63], v[74:75], v[70:71]
	;; [unrolled: 5-line block ×26, first 2 shown]
	v_add_co_u32_e32 v2, vcc, 0xd8, v2
	s_add_i32 s33, s33, -1
	v_cndmask_b32_e64 v63, v1, v9, s[54:55]
	v_cndmask_b32_e64 v62, v0, v8, s[54:55]
	v_addc_co_u32_e32 v3, vcc, 0, v3, vcc
	s_cmp_eq_u32 s33, 0
	v_add_u32_e32 v4, s59, v4
	s_cbranch_scc1 .LBB13_2
.LBB13_7:                               ;   Parent Loop BB13_4 Depth=1
                                        ; =>  This Inner Loop Header: Depth=2
	v_ashrrev_i32_e32 v5, 31, v4
	v_lshlrev_b64 v[0:1], 3, v[4:5]
	buffer_load_dword v5, off, s[96:99], 0  ; 4-byte Folded Reload
	global_load_dwordx2 v[64:65], v[2:3], off
	v_pk_mov_b32 v[66:67], v[6:7], v[6:7] op_sel:[0,1]
	s_waitcnt vmcnt(1)
	v_add_co_u32_e32 v5, vcc, v5, v0
	buffer_load_dword v0, off, s[96:99], 0 offset:4 ; 4-byte Folded Reload
	s_waitcnt vmcnt(0)
	v_addc_co_u32_e32 v52, vcc, v0, v1, vcc
	s_mov_b64 s[72:73], exec
	v_readlane_b32 vcc_lo, v126, 51
	v_readlane_b32 vcc_hi, v126, 52
	s_and_b64 vcc, s[72:73], vcc
	s_mov_b64 exec, vcc
	s_cbranch_execz .LBB13_9
; %bb.8:                                ;   in Loop: Header=BB13_7 Depth=2
	buffer_load_dword v0, off, s[96:99], 0 offset:8 ; 4-byte Folded Reload
	buffer_load_dword v1, off, s[96:99], 0 offset:12 ; 4-byte Folded Reload
	s_waitcnt vmcnt(1)
	v_add_co_u32_e32 v0, vcc, v5, v0
	s_waitcnt vmcnt(0)
	v_addc_co_u32_e32 v1, vcc, v52, v1, vcc
	global_load_dwordx2 v[66:67], v[0:1], off
.LBB13_9:                               ;   in Loop: Header=BB13_7 Depth=2
	s_or_b64 exec, exec, s[72:73]
	global_load_dwordx2 v[68:69], v[2:3], off offset:8
	v_pk_mov_b32 v[70:71], 0, 0
	v_pk_mov_b32 v[72:73], v[70:71], v[70:71] op_sel:[0,1]
	s_mov_b64 s[72:73], exec
	v_readlane_b32 vcc_lo, v126, 53
	v_readlane_b32 vcc_hi, v126, 54
	s_and_b64 vcc, s[72:73], vcc
	s_mov_b64 exec, vcc
	s_cbranch_execz .LBB13_11
; %bb.10:                               ;   in Loop: Header=BB13_7 Depth=2
	buffer_load_dword v0, off, s[96:99], 0 offset:16 ; 4-byte Folded Reload
	buffer_load_dword v1, off, s[96:99], 0 offset:20 ; 4-byte Folded Reload
	s_waitcnt vmcnt(1)
	v_add_co_u32_e32 v0, vcc, v5, v0
	s_waitcnt vmcnt(0)
	v_addc_co_u32_e32 v1, vcc, v52, v1, vcc
	global_load_dwordx2 v[72:73], v[0:1], off
.LBB13_11:                              ;   in Loop: Header=BB13_7 Depth=2
	s_or_b64 exec, exec, s[72:73]
	global_load_dwordx2 v[74:75], v[2:3], off offset:16
	s_mov_b64 s[72:73], exec
	v_readlane_b32 vcc_lo, v126, 55
	v_readlane_b32 vcc_hi, v126, 56
	s_and_b64 vcc, s[72:73], vcc
	s_mov_b64 exec, vcc
	s_cbranch_execz .LBB13_13
; %bb.12:                               ;   in Loop: Header=BB13_7 Depth=2
	buffer_load_dword v0, off, s[96:99], 0 offset:24 ; 4-byte Folded Reload
	buffer_load_dword v1, off, s[96:99], 0 offset:28 ; 4-byte Folded Reload
	s_waitcnt vmcnt(1)
	v_add_co_u32_e32 v0, vcc, v5, v0
	s_waitcnt vmcnt(0)
	v_addc_co_u32_e32 v1, vcc, v52, v1, vcc
	global_load_dwordx2 v[70:71], v[0:1], off
.LBB13_13:                              ;   in Loop: Header=BB13_7 Depth=2
	s_or_b64 exec, exec, s[72:73]
	global_load_dwordx2 v[76:77], v[2:3], off offset:24
	v_pk_mov_b32 v[78:79], 0, 0
	v_pk_mov_b32 v[80:81], v[78:79], v[78:79] op_sel:[0,1]
	s_mov_b64 s[72:73], exec
	v_readlane_b32 vcc_lo, v126, 57
	v_readlane_b32 vcc_hi, v126, 58
	s_and_b64 vcc, s[72:73], vcc
	s_mov_b64 exec, vcc
	s_cbranch_execz .LBB13_15
; %bb.14:                               ;   in Loop: Header=BB13_7 Depth=2
	buffer_load_dword v0, off, s[96:99], 0 offset:32 ; 4-byte Folded Reload
	buffer_load_dword v1, off, s[96:99], 0 offset:36 ; 4-byte Folded Reload
	s_waitcnt vmcnt(1)
	v_add_co_u32_e32 v0, vcc, v5, v0
	s_waitcnt vmcnt(0)
	v_addc_co_u32_e32 v1, vcc, v52, v1, vcc
	global_load_dwordx2 v[80:81], v[0:1], off
.LBB13_15:                              ;   in Loop: Header=BB13_7 Depth=2
	s_or_b64 exec, exec, s[72:73]
	global_load_dwordx2 v[82:83], v[2:3], off offset:32
	s_mov_b64 s[72:73], exec
	v_readlane_b32 vcc_lo, v126, 59
	v_readlane_b32 vcc_hi, v126, 60
	s_and_b64 vcc, s[72:73], vcc
	s_mov_b64 exec, vcc
	s_cbranch_execz .LBB13_17
; %bb.16:                               ;   in Loop: Header=BB13_7 Depth=2
	buffer_load_dword v0, off, s[96:99], 0 offset:40 ; 4-byte Folded Reload
	buffer_load_dword v1, off, s[96:99], 0 offset:44 ; 4-byte Folded Reload
	s_waitcnt vmcnt(1)
	v_add_co_u32_e32 v0, vcc, v5, v0
	s_waitcnt vmcnt(0)
	v_addc_co_u32_e32 v1, vcc, v52, v1, vcc
	global_load_dwordx2 v[78:79], v[0:1], off
.LBB13_17:                              ;   in Loop: Header=BB13_7 Depth=2
	;; [unrolled: 36-line block ×4, first 2 shown]
	s_or_b64 exec, exec, s[72:73]
	global_load_dwordx2 v[100:101], v[2:3], off offset:72
	v_pk_mov_b32 v[102:103], 0, 0
	v_pk_mov_b32 v[104:105], v[102:103], v[102:103] op_sel:[0,1]
	s_and_saveexec_b64 s[72:73], s[74:75]
	s_cbranch_execz .LBB13_27
; %bb.26:                               ;   in Loop: Header=BB13_7 Depth=2
	buffer_load_dword v0, off, s[96:99], 0 offset:80 ; 4-byte Folded Reload
	buffer_load_dword v1, off, s[96:99], 0 offset:84 ; 4-byte Folded Reload
	s_waitcnt vmcnt(1)
	v_add_co_u32_e32 v0, vcc, v5, v0
	s_waitcnt vmcnt(0)
	v_addc_co_u32_e32 v1, vcc, v52, v1, vcc
	global_load_dwordx2 v[104:105], v[0:1], off
.LBB13_27:                              ;   in Loop: Header=BB13_7 Depth=2
	s_or_b64 exec, exec, s[72:73]
	global_load_dwordx2 v[106:107], v[2:3], off offset:80
	s_mov_b64 s[72:73], exec
	v_readlane_b32 vcc_lo, v127, 5
	v_readlane_b32 vcc_hi, v127, 6
	s_and_b64 vcc, s[72:73], vcc
	s_mov_b64 exec, vcc
	s_cbranch_execz .LBB13_29
; %bb.28:                               ;   in Loop: Header=BB13_7 Depth=2
	buffer_load_dword v0, off, s[96:99], 0 offset:88 ; 4-byte Folded Reload
	buffer_load_dword v1, off, s[96:99], 0 offset:92 ; 4-byte Folded Reload
	s_waitcnt vmcnt(1)
	v_add_co_u32_e32 v0, vcc, v5, v0
	s_waitcnt vmcnt(0)
	v_addc_co_u32_e32 v1, vcc, v52, v1, vcc
	global_load_dwordx2 v[102:103], v[0:1], off
.LBB13_29:                              ;   in Loop: Header=BB13_7 Depth=2
	s_or_b64 exec, exec, s[72:73]
	global_load_dwordx2 v[108:109], v[2:3], off offset:88
	v_pk_mov_b32 v[110:111], 0, 0
	v_pk_mov_b32 v[112:113], v[110:111], v[110:111] op_sel:[0,1]
	s_and_saveexec_b64 s[72:73], s[68:69]
	s_cbranch_execz .LBB13_31
; %bb.30:                               ;   in Loop: Header=BB13_7 Depth=2
	buffer_load_dword v0, off, s[96:99], 0 offset:96 ; 4-byte Folded Reload
	buffer_load_dword v1, off, s[96:99], 0 offset:100 ; 4-byte Folded Reload
	s_waitcnt vmcnt(1)
	v_add_co_u32_e32 v0, vcc, v5, v0
	s_waitcnt vmcnt(0)
	v_addc_co_u32_e32 v1, vcc, v52, v1, vcc
	global_load_dwordx2 v[112:113], v[0:1], off
.LBB13_31:                              ;   in Loop: Header=BB13_7 Depth=2
	s_or_b64 exec, exec, s[72:73]
	global_load_dwordx2 v[114:115], v[2:3], off offset:96
	s_and_saveexec_b64 s[72:73], s[70:71]
	s_cbranch_execz .LBB13_33
; %bb.32:                               ;   in Loop: Header=BB13_7 Depth=2
	buffer_load_dword v0, off, s[96:99], 0 offset:104 ; 4-byte Folded Reload
	buffer_load_dword v1, off, s[96:99], 0 offset:108 ; 4-byte Folded Reload
	s_waitcnt vmcnt(1)
	v_add_co_u32_e32 v0, vcc, v5, v0
	s_waitcnt vmcnt(0)
	v_addc_co_u32_e32 v1, vcc, v52, v1, vcc
	global_load_dwordx2 v[110:111], v[0:1], off
.LBB13_33:                              ;   in Loop: Header=BB13_7 Depth=2
	s_or_b64 exec, exec, s[72:73]
	global_load_dwordx2 v[116:117], v[2:3], off offset:104
	v_pk_mov_b32 v[118:119], 0, 0
	v_pk_mov_b32 v[120:121], v[118:119], v[118:119] op_sel:[0,1]
	s_and_saveexec_b64 s[72:73], s[64:65]
	s_cbranch_execz .LBB13_35
; %bb.34:                               ;   in Loop: Header=BB13_7 Depth=2
	buffer_load_dword v0, off, s[96:99], 0 offset:112 ; 4-byte Folded Reload
	buffer_load_dword v1, off, s[96:99], 0 offset:116 ; 4-byte Folded Reload
	s_waitcnt vmcnt(1)
	v_add_co_u32_e32 v0, vcc, v5, v0
	s_waitcnt vmcnt(0)
	v_addc_co_u32_e32 v1, vcc, v52, v1, vcc
	global_load_dwordx2 v[120:121], v[0:1], off
.LBB13_35:                              ;   in Loop: Header=BB13_7 Depth=2
	s_or_b64 exec, exec, s[72:73]
	global_load_dwordx2 v[122:123], v[2:3], off offset:112
	s_and_saveexec_b64 s[72:73], s[66:67]
	;; [unrolled: 28-line block ×6, first 2 shown]
	s_cbranch_execz .LBB13_53
; %bb.52:                               ;   in Loop: Header=BB13_7 Depth=2
	buffer_load_dword v30, off, s[96:99], 0 offset:184 ; 4-byte Folded Reload
	buffer_load_dword v31, off, s[96:99], 0 offset:188 ; 4-byte Folded Reload
	s_waitcnt vmcnt(1)
	v_add_co_u32_e32 v30, vcc, v5, v30
	s_waitcnt vmcnt(0)
	v_addc_co_u32_e32 v31, vcc, v52, v31, vcc
	global_load_dwordx2 v[30:31], v[30:31], off
.LBB13_53:                              ;   in Loop: Header=BB13_7 Depth=2
	s_or_b64 exec, exec, s[72:73]
	global_load_dwordx2 v[36:37], v[2:3], off offset:184
	v_pk_mov_b32 v[38:39], 0, 0
	v_pk_mov_b32 v[40:41], v[38:39], v[38:39] op_sel:[0,1]
	s_and_saveexec_b64 s[72:73], s[76:77]
	s_cbranch_execz .LBB13_55
; %bb.54:                               ;   in Loop: Header=BB13_7 Depth=2
	v_add_co_u32_e32 v40, vcc, v5, v54
	v_addc_co_u32_e32 v41, vcc, v52, v55, vcc
	global_load_dwordx2 v[40:41], v[40:41], off
.LBB13_55:                              ;   in Loop: Header=BB13_7 Depth=2
	s_or_b64 exec, exec, s[72:73]
	global_load_dwordx2 v[42:43], v[2:3], off offset:192
	s_and_saveexec_b64 s[72:73], s[78:79]
	s_cbranch_execz .LBB13_57
; %bb.56:                               ;   in Loop: Header=BB13_7 Depth=2
	v_add_co_u32_e32 v38, vcc, v5, v56
	v_addc_co_u32_e32 v39, vcc, v52, v57, vcc
	global_load_dwordx2 v[38:39], v[38:39], off
.LBB13_57:                              ;   in Loop: Header=BB13_7 Depth=2
	s_or_b64 exec, exec, s[72:73]
	global_load_dwordx2 v[44:45], v[2:3], off offset:200
	v_pk_mov_b32 v[46:47], 0, 0
	v_pk_mov_b32 v[48:49], v[46:47], v[46:47] op_sel:[0,1]
	s_and_saveexec_b64 s[72:73], s[84:85]
	s_cbranch_execz .LBB13_59
; %bb.58:                               ;   in Loop: Header=BB13_7 Depth=2
	v_add_co_u32_e32 v48, vcc, v5, v58
	v_addc_co_u32_e32 v49, vcc, v52, v59, vcc
	global_load_dwordx2 v[48:49], v[48:49], off
.LBB13_59:                              ;   in Loop: Header=BB13_7 Depth=2
	s_or_b64 exec, exec, s[72:73]
	global_load_dwordx2 v[50:51], v[2:3], off offset:208
	s_and_saveexec_b64 s[72:73], s[82:83]
	s_cbranch_execz .LBB13_6
; %bb.60:                               ;   in Loop: Header=BB13_7 Depth=2
	v_add_co_u32_e32 v46, vcc, v5, v60
	v_addc_co_u32_e32 v47, vcc, v52, v61, vcc
	global_load_dwordx2 v[46:47], v[46:47], off
	s_branch .LBB13_6
.LBB13_61:
	s_endpgm
	.section	.rodata,"a",@progbits
	.p2align	6, 0x0
	.amdhsa_kernel _ZN2at6native12_GLOBAL__N_143conv_depthwise3d_cuda_backward_input_kernelIddLi3ELi3ELi3ELi1ELi1ELi1ELin1ELin1ELin1EEEvN5torch10headeronly6detail27GenericPackedTensorAccessorINS5_14TensorAccessorIN3c108ArrayRefIlEEKT_Lm4ENS4_16DefaultPtrTraitsEiEENS_6detail16IndexBoundsCheckILm5EiEESC_Lm5ESD_iEENS6_INS7_ISA_SB_Lm4ESD_iEESH_SB_Lm5ESD_iEESI_iiiiiiiii
		.amdhsa_group_segment_fixed_size 0
		.amdhsa_private_segment_fixed_size 252
		.amdhsa_kernarg_size 440
		.amdhsa_user_sgpr_count 6
		.amdhsa_user_sgpr_private_segment_buffer 1
		.amdhsa_user_sgpr_dispatch_ptr 0
		.amdhsa_user_sgpr_queue_ptr 0
		.amdhsa_user_sgpr_kernarg_segment_ptr 1
		.amdhsa_user_sgpr_dispatch_id 0
		.amdhsa_user_sgpr_flat_scratch_init 0
		.amdhsa_user_sgpr_kernarg_preload_length 0
		.amdhsa_user_sgpr_kernarg_preload_offset 0
		.amdhsa_user_sgpr_private_segment_size 0
		.amdhsa_uses_dynamic_stack 0
		.amdhsa_system_sgpr_private_segment_wavefront_offset 1
		.amdhsa_system_sgpr_workgroup_id_x 1
		.amdhsa_system_sgpr_workgroup_id_y 0
		.amdhsa_system_sgpr_workgroup_id_z 0
		.amdhsa_system_sgpr_workgroup_info 0
		.amdhsa_system_vgpr_workitem_id 0
		.amdhsa_next_free_vgpr 128
		.amdhsa_next_free_sgpr 100
		.amdhsa_accum_offset 128
		.amdhsa_reserve_vcc 1
		.amdhsa_reserve_flat_scratch 0
		.amdhsa_float_round_mode_32 0
		.amdhsa_float_round_mode_16_64 0
		.amdhsa_float_denorm_mode_32 3
		.amdhsa_float_denorm_mode_16_64 3
		.amdhsa_dx10_clamp 1
		.amdhsa_ieee_mode 1
		.amdhsa_fp16_overflow 0
		.amdhsa_tg_split 0
		.amdhsa_exception_fp_ieee_invalid_op 0
		.amdhsa_exception_fp_denorm_src 0
		.amdhsa_exception_fp_ieee_div_zero 0
		.amdhsa_exception_fp_ieee_overflow 0
		.amdhsa_exception_fp_ieee_underflow 0
		.amdhsa_exception_fp_ieee_inexact 0
		.amdhsa_exception_int_div_zero 0
	.end_amdhsa_kernel
	.section	.text._ZN2at6native12_GLOBAL__N_143conv_depthwise3d_cuda_backward_input_kernelIddLi3ELi3ELi3ELi1ELi1ELi1ELin1ELin1ELin1EEEvN5torch10headeronly6detail27GenericPackedTensorAccessorINS5_14TensorAccessorIN3c108ArrayRefIlEEKT_Lm4ENS4_16DefaultPtrTraitsEiEENS_6detail16IndexBoundsCheckILm5EiEESC_Lm5ESD_iEENS6_INS7_ISA_SB_Lm4ESD_iEESH_SB_Lm5ESD_iEESI_iiiiiiiii,"axG",@progbits,_ZN2at6native12_GLOBAL__N_143conv_depthwise3d_cuda_backward_input_kernelIddLi3ELi3ELi3ELi1ELi1ELi1ELin1ELin1ELin1EEEvN5torch10headeronly6detail27GenericPackedTensorAccessorINS5_14TensorAccessorIN3c108ArrayRefIlEEKT_Lm4ENS4_16DefaultPtrTraitsEiEENS_6detail16IndexBoundsCheckILm5EiEESC_Lm5ESD_iEENS6_INS7_ISA_SB_Lm4ESD_iEESH_SB_Lm5ESD_iEESI_iiiiiiiii,comdat
.Lfunc_end13:
	.size	_ZN2at6native12_GLOBAL__N_143conv_depthwise3d_cuda_backward_input_kernelIddLi3ELi3ELi3ELi1ELi1ELi1ELin1ELin1ELin1EEEvN5torch10headeronly6detail27GenericPackedTensorAccessorINS5_14TensorAccessorIN3c108ArrayRefIlEEKT_Lm4ENS4_16DefaultPtrTraitsEiEENS_6detail16IndexBoundsCheckILm5EiEESC_Lm5ESD_iEENS6_INS7_ISA_SB_Lm4ESD_iEESH_SB_Lm5ESD_iEESI_iiiiiiiii, .Lfunc_end13-_ZN2at6native12_GLOBAL__N_143conv_depthwise3d_cuda_backward_input_kernelIddLi3ELi3ELi3ELi1ELi1ELi1ELin1ELin1ELin1EEEvN5torch10headeronly6detail27GenericPackedTensorAccessorINS5_14TensorAccessorIN3c108ArrayRefIlEEKT_Lm4ENS4_16DefaultPtrTraitsEiEENS_6detail16IndexBoundsCheckILm5EiEESC_Lm5ESD_iEENS6_INS7_ISA_SB_Lm4ESD_iEESH_SB_Lm5ESD_iEESI_iiiiiiiii
                                        ; -- End function
	.section	.AMDGPU.csdata,"",@progbits
; Kernel info:
; codeLenInByte = 8324
; NumSgprs: 104
; NumVgprs: 128
; NumAgprs: 0
; TotalNumVgprs: 128
; ScratchSize: 252
; MemoryBound: 0
; FloatMode: 240
; IeeeMode: 1
; LDSByteSize: 0 bytes/workgroup (compile time only)
; SGPRBlocks: 12
; VGPRBlocks: 15
; NumSGPRsForWavesPerEU: 104
; NumVGPRsForWavesPerEU: 128
; AccumOffset: 128
; Occupancy: 4
; WaveLimiterHint : 0
; COMPUTE_PGM_RSRC2:SCRATCH_EN: 1
; COMPUTE_PGM_RSRC2:USER_SGPR: 6
; COMPUTE_PGM_RSRC2:TRAP_HANDLER: 0
; COMPUTE_PGM_RSRC2:TGID_X_EN: 1
; COMPUTE_PGM_RSRC2:TGID_Y_EN: 0
; COMPUTE_PGM_RSRC2:TGID_Z_EN: 0
; COMPUTE_PGM_RSRC2:TIDIG_COMP_CNT: 0
; COMPUTE_PGM_RSRC3_GFX90A:ACCUM_OFFSET: 31
; COMPUTE_PGM_RSRC3_GFX90A:TG_SPLIT: 0
	.section	.text._ZN2at6native12_GLOBAL__N_143conv_depthwise3d_cuda_backward_input_kernelIddLi3ELi3ELi3ELin1ELin1ELin1ELi1ELi1ELi1EEEvN5torch10headeronly6detail27GenericPackedTensorAccessorINS5_14TensorAccessorIN3c108ArrayRefIlEEKT_Lm4ENS4_16DefaultPtrTraitsEiEENS_6detail16IndexBoundsCheckILm5EiEESC_Lm5ESD_iEENS6_INS7_ISA_SB_Lm4ESD_iEESH_SB_Lm5ESD_iEESI_iiiiiiiii,"axG",@progbits,_ZN2at6native12_GLOBAL__N_143conv_depthwise3d_cuda_backward_input_kernelIddLi3ELi3ELi3ELin1ELin1ELin1ELi1ELi1ELi1EEEvN5torch10headeronly6detail27GenericPackedTensorAccessorINS5_14TensorAccessorIN3c108ArrayRefIlEEKT_Lm4ENS4_16DefaultPtrTraitsEiEENS_6detail16IndexBoundsCheckILm5EiEESC_Lm5ESD_iEENS6_INS7_ISA_SB_Lm4ESD_iEESH_SB_Lm5ESD_iEESI_iiiiiiiii,comdat
	.globl	_ZN2at6native12_GLOBAL__N_143conv_depthwise3d_cuda_backward_input_kernelIddLi3ELi3ELi3ELin1ELin1ELin1ELi1ELi1ELi1EEEvN5torch10headeronly6detail27GenericPackedTensorAccessorINS5_14TensorAccessorIN3c108ArrayRefIlEEKT_Lm4ENS4_16DefaultPtrTraitsEiEENS_6detail16IndexBoundsCheckILm5EiEESC_Lm5ESD_iEENS6_INS7_ISA_SB_Lm4ESD_iEESH_SB_Lm5ESD_iEESI_iiiiiiiii ; -- Begin function _ZN2at6native12_GLOBAL__N_143conv_depthwise3d_cuda_backward_input_kernelIddLi3ELi3ELi3ELin1ELin1ELin1ELi1ELi1ELi1EEEvN5torch10headeronly6detail27GenericPackedTensorAccessorINS5_14TensorAccessorIN3c108ArrayRefIlEEKT_Lm4ENS4_16DefaultPtrTraitsEiEENS_6detail16IndexBoundsCheckILm5EiEESC_Lm5ESD_iEENS6_INS7_ISA_SB_Lm4ESD_iEESH_SB_Lm5ESD_iEESI_iiiiiiiii
	.p2align	8
	.type	_ZN2at6native12_GLOBAL__N_143conv_depthwise3d_cuda_backward_input_kernelIddLi3ELi3ELi3ELin1ELin1ELin1ELi1ELi1ELi1EEEvN5torch10headeronly6detail27GenericPackedTensorAccessorINS5_14TensorAccessorIN3c108ArrayRefIlEEKT_Lm4ENS4_16DefaultPtrTraitsEiEENS_6detail16IndexBoundsCheckILm5EiEESC_Lm5ESD_iEENS6_INS7_ISA_SB_Lm4ESD_iEESH_SB_Lm5ESD_iEESI_iiiiiiiii,@function
_ZN2at6native12_GLOBAL__N_143conv_depthwise3d_cuda_backward_input_kernelIddLi3ELi3ELi3ELin1ELin1ELin1ELi1ELi1ELi1EEEvN5torch10headeronly6detail27GenericPackedTensorAccessorINS5_14TensorAccessorIN3c108ArrayRefIlEEKT_Lm4ENS4_16DefaultPtrTraitsEiEENS_6detail16IndexBoundsCheckILm5EiEESC_Lm5ESD_iEENS6_INS7_ISA_SB_Lm4ESD_iEESH_SB_Lm5ESD_iEESI_iiiiiiiii: ; @_ZN2at6native12_GLOBAL__N_143conv_depthwise3d_cuda_backward_input_kernelIddLi3ELi3ELi3ELin1ELin1ELin1ELi1ELi1ELi1EEEvN5torch10headeronly6detail27GenericPackedTensorAccessorINS5_14TensorAccessorIN3c108ArrayRefIlEEKT_Lm4ENS4_16DefaultPtrTraitsEiEENS_6detail16IndexBoundsCheckILm5EiEESC_Lm5ESD_iEENS6_INS7_ISA_SB_Lm4ESD_iEESH_SB_Lm5ESD_iEESI_iiiiiiiii
; %bb.0:
	s_load_dwordx4 s[16:19], s[4:5], 0x38
	s_load_dwordx2 s[26:27], s[4:5], 0x48
	s_mov_b64 s[98:99], s[2:3]
	s_mov_b64 s[96:97], s[0:1]
	s_add_u32 s96, s96, s7
	s_addc_u32 s97, s97, 0
	s_waitcnt lgkmcnt(0)
	s_abs_i32 s33, s17
	v_cvt_f32_u32_e32 v2, s33
	s_load_dword s2, s[4:5], 0xc4
	s_add_u32 s0, s4, 0xb8
	v_mov_b32_e32 v1, 0
	v_rcp_iflag_f32_e32 v2, v2
	v_mov_b32_e32 v3, s6
	s_mul_i32 s34, s27, s16
	s_addc_u32 s1, s5, 0
	v_mul_f32_e32 v2, 0x4f7ffffe, v2
	v_cvt_u32_f32_e32 v2, v2
	s_waitcnt lgkmcnt(0)
	s_and_b32 s2, s2, 0xffff
	s_ashr_i32 s35, s34, 31
	v_mad_u64_u32 v[4:5], s[6:7], s2, v3, v[0:1]
	v_readfirstlane_b32 s3, v2
	v_cmp_gt_i64_e32 vcc, s[34:35], v[4:5]
	s_and_saveexec_b64 s[6:7], vcc
	s_cbranch_execz .LBB14_60
; %bb.1:
	s_load_dwordx4 s[20:23], s[4:5], 0xc
	s_load_dwordx2 s[6:7], s[4:5], 0x0
	s_sub_i32 s8, 0, s33
                                        ; implicit-def: $vgpr127 : SGPR spill to VGPR lane
	s_mul_i32 s9, s8, s3
	s_mul_hi_u32 s9, s3, s9
	s_add_i32 s3, s3, s9
	s_waitcnt lgkmcnt(0)
	v_writelane_b32 v127, s6, 0
	v_writelane_b32 v127, s7, 1
	s_abs_i32 s7, s20
	s_mul_hi_u32 s3, s7, s3
	s_mul_i32 s9, s3, s33
	s_ashr_i32 s16, s17, 31
	s_ashr_i32 s6, s20, 31
	s_sub_i32 s7, s7, s9
	s_xor_b32 s6, s6, s16
	s_add_i32 s9, s3, 1
	s_sub_i32 s10, s7, s33
	s_cmp_ge_u32 s7, s33
	s_cselect_b32 s3, s9, s3
	s_cselect_b32 s7, s10, s7
	s_add_i32 s9, s3, 1
	s_cmp_ge_u32 s7, s33
	s_cselect_b32 s3, s9, s3
	s_xor_b32 s3, s3, s6
	s_sub_i32 s20, s3, s6
	s_load_dword s3, s[0:1], 0x0
	s_load_dwordx4 s[44:47], s[4:5], 0x9c
	s_load_dword s6, s[4:5], 0x7c
	s_abs_i32 s95, s26
	v_cvt_f32_u32_e32 v0, s95
                                        ; kill: killed $sgpr0 killed $sgpr1
	s_load_dwordx2 s[0:1], s[4:5], 0x60
	s_load_dwordx4 s[28:31], s[4:5], 0x50
	s_waitcnt lgkmcnt(0)
	v_writelane_b32 v127, s6, 2
	s_load_dwordx2 s[40:41], s[4:5], 0x1c
	s_load_dwordx2 s[6:7], s[4:5], 0x30
	v_rcp_iflag_f32_e32 v0, v0
	s_load_dwordx2 s[12:13], s[4:5], 0xac
	s_abs_i32 s94, s19
	v_cvt_f32_u32_e32 v1, s94
	s_waitcnt lgkmcnt(0)
	v_writelane_b32 v127, s6, 3
	v_writelane_b32 v127, s7, 4
	v_mul_f32_e32 v0, 0x4f7ffffe, v0
	v_writelane_b32 v127, s0, 5
	v_cvt_u32_f32_e32 v0, v0
	v_writelane_b32 v127, s1, 6
	s_mul_i32 s0, s3, s2
	v_writelane_b32 v127, s0, 7
	s_lshl_b32 s0, s13, 1
	v_writelane_b32 v127, s0, 8
	s_sub_i32 s0, 0, s95
	v_mul_lo_u32 v3, s0, v0
	v_mul_hi_u32 v3, v0, v3
	v_add_u32_e32 v0, v0, v3
	s_abs_i32 s38, s18
	buffer_store_dword v0, off, s[96:99], 0 offset:212 ; 4-byte Folded Spill
	v_cvt_f32_u32_e32 v0, s38
	v_rcp_iflag_f32_e32 v1, v1
	s_sub_i32 s0, 0, s94
	v_writelane_b32 v127, s12, 9
	v_rcp_iflag_f32_e32 v0, v0
	v_mul_f32_e32 v1, 0x4f7ffffe, v1
	v_cvt_u32_f32_e32 v1, v1
	v_writelane_b32 v127, s13, 10
	v_mul_f32_e32 v0, 0x4f7ffffe, v0
	v_cvt_u32_f32_e32 v0, v0
	v_mul_lo_u32 v3, s0, v1
	v_mul_hi_u32 v3, v1, v3
	v_add_u32_e32 v1, v1, v3
	s_sub_i32 s0, 0, s38
	buffer_store_dword v1, off, s[96:99], 0 offset:216 ; 4-byte Folded Spill
	v_mul_lo_u32 v1, s0, v0
	v_mul_hi_u32 v1, v0, v1
	v_writelane_b32 v127, s44, 11
	v_add_u32_e32 v0, v0, v1
	v_writelane_b32 v127, s45, 12
	buffer_store_dword v0, off, s[96:99], 0 offset:220 ; 4-byte Folded Spill
	v_mul_lo_u32 v0, s8, v2
	v_writelane_b32 v127, s46, 13
	v_mul_hi_u32 v0, v2, v0
	s_mov_b32 s24, 0
	s_lshl_b32 s37, s12, 1
	v_writelane_b32 v127, s47, 14
	s_lshl_b32 s44, s47, 1
	s_ashr_i32 s45, s26, 31
	s_ashr_i32 s39, s19, 31
	;; [unrolled: 1-line block ×3, first 2 shown]
	v_add_u32_e32 v0, v2, v0
	s_mov_b64 s[46:47], 0
                                        ; kill: killed $sgpr4 killed $sgpr5
	buffer_store_dword v0, off, s[96:99], 0 offset:224 ; 4-byte Folded Spill
	s_branch .LBB14_3
.LBB14_2:                               ;   in Loop: Header=BB14_3 Depth=1
	s_or_b64 exec, exec, s[48:49]
	buffer_load_dword v0, off, s[96:99], 0 offset:200 ; 4-byte Folded Reload
	v_readlane_b32 s0, v127, 3
	v_readlane_b32 s1, v127, 4
	v_mov_b32_e32 v2, s1
	s_waitcnt vmcnt(0)
	v_mul_lo_u32 v0, v0, s27
	v_ashrrev_i32_e32 v1, 31, v0
	v_lshlrev_b64 v[0:1], 3, v[0:1]
	v_add_co_u32_e32 v3, vcc, s0, v0
	buffer_load_dword v0, off, s[96:99], 0 offset:196 ; 4-byte Folded Reload
	v_addc_co_u32_e32 v2, vcc, v2, v1, vcc
	v_readlane_b32 s0, v127, 7
	s_waitcnt vmcnt(0)
	v_mul_lo_u32 v0, s28, v0
	v_ashrrev_i32_e32 v1, 31, v0
	v_lshlrev_b64 v[0:1], 3, v[0:1]
	v_add_co_u32_e32 v3, vcc, v3, v0
	buffer_load_dword v0, off, s[96:99], 0 offset:192 ; 4-byte Folded Reload
	v_addc_co_u32_e32 v2, vcc, v2, v1, vcc
	s_waitcnt vmcnt(0)
	v_mul_lo_u32 v0, s29, v0
	v_ashrrev_i32_e32 v1, 31, v0
	v_lshlrev_b64 v[0:1], 3, v[0:1]
	v_add_co_u32_e32 v3, vcc, v3, v0
	buffer_load_dword v0, off, s[96:99], 0 offset:188 ; 4-byte Folded Reload
	v_addc_co_u32_e32 v2, vcc, v2, v1, vcc
	s_waitcnt vmcnt(0)
	v_mul_lo_u32 v0, s30, v0
	v_ashrrev_i32_e32 v1, 31, v0
	v_lshlrev_b64 v[0:1], 3, v[0:1]
	v_add_co_u32_e32 v3, vcc, v3, v0
	buffer_load_dword v0, off, s[96:99], 0 offset:184 ; 4-byte Folded Reload
	buffer_load_dword v6, off, s[96:99], 0 offset:204 ; 4-byte Folded Reload
	;; [unrolled: 1-line block ×3, first 2 shown]
	v_addc_co_u32_e32 v2, vcc, v2, v1, vcc
	s_waitcnt vmcnt(2)
	v_mul_lo_u32 v0, s31, v0
	v_ashrrev_i32_e32 v1, 31, v0
	v_lshlrev_b64 v[0:1], 3, v[0:1]
	v_add_co_u32_e32 v0, vcc, v3, v0
	v_addc_co_u32_e32 v1, vcc, v2, v1, vcc
	v_mov_b32_e32 v2, s24
	s_waitcnt vmcnt(1)
	v_add_co_u32_e32 v6, vcc, s0, v6
	s_waitcnt vmcnt(0)
	v_addc_co_u32_e32 v7, vcc, v7, v2, vcc
	v_cmp_le_i64_e32 vcc, s[34:35], v[6:7]
	s_or_b64 s[46:47], vcc, s[46:47]
	global_store_dwordx2 v[0:1], v[4:5], off
	v_pk_mov_b32 v[4:5], v[6:7], v[6:7] op_sel:[0,1]
	s_andn2_b64 exec, exec, s[46:47]
	s_cbranch_execz .LBB14_60
.LBB14_3:                               ; =>This Loop Header: Depth=1
                                        ;     Child Loop BB14_6 Depth 2
	buffer_load_dword v2, off, s[96:99], 0 offset:212 ; 4-byte Folded Reload
	v_sub_u32_e32 v1, 0, v4
	v_max_i32_e32 v1, v4, v1
	v_ashrrev_i32_e32 v0, 31, v4
	buffer_store_dword v4, off, s[96:99], 0 offset:204 ; 4-byte Folded Spill
	s_nop 0
	buffer_store_dword v5, off, s[96:99], 0 offset:208 ; 4-byte Folded Spill
	v_xor_b32_e32 v0, s45, v0
	s_waitcnt vmcnt(2)
	v_mul_hi_u32 v2, v1, v2
	v_mul_lo_u32 v3, v2, s95
	v_sub_u32_e32 v1, v1, v3
	v_add_u32_e32 v3, 1, v2
	v_cmp_le_u32_e32 vcc, s95, v1
	v_cndmask_b32_e32 v2, v2, v3, vcc
	v_subrev_u32_e32 v3, s95, v1
	v_cndmask_b32_e32 v1, v1, v3, vcc
	v_add_u32_e32 v3, 1, v2
	v_cmp_le_u32_e32 vcc, s95, v1
	v_cndmask_b32_e32 v1, v2, v3, vcc
	buffer_load_dword v3, off, s[96:99], 0 offset:216 ; 4-byte Folded Reload
	v_xor_b32_e32 v1, v1, v0
	v_sub_u32_e32 v0, v1, v0
	v_sub_u32_e32 v2, 0, v0
	v_max_i32_e32 v2, v0, v2
	v_mul_lo_u32 v1, v0, s26
	v_sub_u32_e32 v1, v4, v1
	buffer_store_dword v1, off, s[96:99], 0 offset:184 ; 4-byte Folded Spill
	v_ashrrev_i32_e32 v1, 31, v0
	v_xor_b32_e32 v1, s39, v1
	s_waitcnt vmcnt(1)
	v_mul_hi_u32 v3, v2, v3
	v_mul_lo_u32 v4, v3, s94
	v_sub_u32_e32 v2, v2, v4
	v_add_u32_e32 v4, 1, v3
	v_cmp_le_u32_e32 vcc, s94, v2
	v_cndmask_b32_e32 v3, v3, v4, vcc
	v_subrev_u32_e32 v4, s94, v2
	v_cndmask_b32_e32 v2, v2, v4, vcc
	v_add_u32_e32 v4, 1, v3
	v_cmp_le_u32_e32 vcc, s94, v2
	v_cndmask_b32_e32 v2, v3, v4, vcc
	buffer_load_dword v3, off, s[96:99], 0 offset:220 ; 4-byte Folded Reload
	v_xor_b32_e32 v2, v2, v1
	v_sub_u32_e32 v1, v2, v1
	v_mul_lo_u32 v2, v1, s19
	v_sub_u32_e32 v0, v0, v2
	v_sub_u32_e32 v2, 0, v1
	v_max_i32_e32 v2, v1, v2
	buffer_store_dword v0, off, s[96:99], 0 offset:188 ; 4-byte Folded Spill
	v_ashrrev_i32_e32 v0, 31, v1
	v_xor_b32_e32 v0, s36, v0
	s_waitcnt vmcnt(1)
	v_mul_hi_u32 v3, v2, v3
	v_mul_lo_u32 v4, v3, s38
	v_sub_u32_e32 v2, v2, v4
	v_add_u32_e32 v4, 1, v3
	v_cmp_le_u32_e32 vcc, s38, v2
	v_cndmask_b32_e32 v3, v3, v4, vcc
	v_subrev_u32_e32 v4, s38, v2
	v_cndmask_b32_e32 v2, v2, v4, vcc
	v_add_u32_e32 v4, 1, v3
	v_cmp_le_u32_e32 vcc, s38, v2
	v_cndmask_b32_e32 v2, v3, v4, vcc
	buffer_load_dword v3, off, s[96:99], 0 offset:224 ; 4-byte Folded Reload
	v_xor_b32_e32 v2, v2, v0
	v_sub_u32_e32 v0, v2, v0
	v_mul_lo_u32 v2, v0, s18
	v_sub_u32_e32 v1, v1, v2
	v_sub_u32_e32 v2, 0, v0
	v_max_i32_e32 v2, v0, v2
	buffer_store_dword v1, off, s[96:99], 0 offset:192 ; 4-byte Folded Spill
	v_ashrrev_i32_e32 v1, 31, v0
	v_xor_b32_e32 v1, s16, v1
	s_waitcnt vmcnt(1)
	v_mul_hi_u32 v3, v2, v3
	v_mul_lo_u32 v4, v3, s33
	v_sub_u32_e32 v2, v2, v4
	v_add_u32_e32 v4, 1, v3
	v_cmp_le_u32_e32 vcc, s33, v2
	v_cndmask_b32_e32 v3, v3, v4, vcc
	v_subrev_u32_e32 v4, s33, v2
	v_cndmask_b32_e32 v2, v2, v4, vcc
	v_add_u32_e32 v4, 1, v3
	v_cmp_le_u32_e32 vcc, s33, v2
	v_cndmask_b32_e32 v2, v3, v4, vcc
	v_xor_b32_e32 v2, v2, v1
	v_sub_u32_e32 v1, v2, v1
	buffer_store_dword v1, off, s[96:99], 0 offset:200 ; 4-byte Folded Spill
	v_mul_lo_u32 v1, v1, s17
	v_sub_u32_e32 v0, v0, v1
	v_mul_lo_u32 v2, v0, s20
	buffer_store_dword v0, off, s[96:99], 0 offset:196 ; 4-byte Folded Spill
	v_add_u32_e32 v0, s20, v2
	v_cmp_lt_i32_e32 vcc, v2, v0
	v_pk_mov_b32 v[4:5], 0, 0
	s_and_saveexec_b64 s[48:49], vcc
	s_cbranch_execz .LBB14_2
; %bb.4:                                ;   in Loop: Header=BB14_3 Depth=1
	buffer_load_dword v0, off, s[96:99], 0 offset:192 ; 4-byte Folded Reload
	v_readlane_b32 s4, v127, 11
	v_readlane_b32 s0, v127, 2
	v_mul_lo_u32 v2, s0, v2
	v_ashrrev_i32_e32 v3, 31, v2
	v_readlane_b32 s0, v127, 5
	v_lshlrev_b64 v[2:3], 3, v[2:3]
	v_readlane_b32 s1, v127, 6
	v_readlane_b32 s5, v127, 12
	v_mov_b32_e32 v4, s1
	v_add_co_u32_e32 v2, vcc, s0, v2
	v_addc_co_u32_e32 v3, vcc, v4, v3, vcc
	v_readlane_b32 s6, v127, 13
	v_readlane_b32 s0, v127, 0
	;; [unrolled: 1-line block ×4, first 2 shown]
	v_mov_b32_e32 v6, s1
	v_readlane_b32 s2, v127, 9
	v_readlane_b32 s3, v127, 10
	v_pk_mov_b32 v[62:63], 0, 0
	buffer_load_dword v4, off, s[96:99], 0 offset:200 ; 4-byte Folded Reload
	s_waitcnt vmcnt(1)
	v_add_u32_e32 v8, s4, v0
	buffer_load_dword v0, off, s[96:99], 0 offset:188 ; 4-byte Folded Reload
	v_subrev_u32_e32 v7, s44, v8
	v_subrev_u32_e32 v10, s7, v8
	v_cmp_gt_i32_e64 s[10:11], s21, v8
	s_waitcnt vmcnt(1)
	v_mul_lo_u32 v4, s40, v4
	v_ashrrev_i32_e32 v5, 31, v4
	v_lshlrev_b64 v[4:5], 3, v[4:5]
	v_add_co_u32_e32 v126, vcc, s0, v4
	v_addc_co_u32_e32 v50, vcc, v6, v5, vcc
	s_waitcnt vmcnt(0)
	v_add_u32_e32 v1, s5, v0
	buffer_load_dword v0, off, s[96:99], 0 offset:184 ; 4-byte Folded Reload
	v_cmp_gt_i32_e64 s[8:9], s22, v1
	v_subrev_u32_e32 v9, s2, v1
	v_subrev_u32_e32 v6, s37, v1
	s_waitcnt vmcnt(0)
	v_add_u32_e32 v0, s6, v0
	v_or_b32_e32 v4, v0, v1
	v_or_b32_e32 v13, v4, v7
	v_or_b32_e32 v14, v4, v10
	v_or_b32_e32 v4, v4, v8
	v_cmp_lt_i32_e64 s[0:1], -1, v4
	v_cmp_gt_i32_e32 vcc, s23, v0
	v_subrev_u32_e32 v4, s3, v0
	s_and_b64 s[0:1], vcc, s[0:1]
	v_or_b32_e32 v5, v4, v1
	s_and_b64 s[0:1], s[0:1], s[8:9]
	v_or_b32_e32 v17, v5, v7
	v_or_b32_e32 v18, v5, v10
	;; [unrolled: 1-line block ×3, first 2 shown]
	s_and_b64 s[50:51], s[0:1], s[10:11]
	v_cmp_lt_i32_e64 s[2:3], -1, v5
	v_cmp_gt_i32_e64 s[0:1], s23, v4
	s_and_b64 s[2:3], s[0:1], s[2:3]
	s_and_b64 s[2:3], s[2:3], s[8:9]
	;; [unrolled: 1-line block ×3, first 2 shown]
	v_readlane_b32 s2, v127, 8
	v_subrev_u32_e32 v5, s2, v0
	v_or_b32_e32 v21, v5, v1
	v_or_b32_e32 v22, v21, v7
	;; [unrolled: 1-line block ×5, first 2 shown]
	v_cmp_lt_i32_e64 s[4:5], -1, v21
	v_cmp_gt_i32_e64 s[2:3], s23, v5
	s_and_b64 s[4:5], s[2:3], s[4:5]
	v_or_b32_e32 v21, v12, v7
	v_or_b32_e32 v24, v12, v10
	;; [unrolled: 1-line block ×3, first 2 shown]
	s_and_b64 s[4:5], s[4:5], s[8:9]
	v_cmp_lt_i32_e64 s[6:7], -1, v12
	v_or_b32_e32 v16, v4, v9
	s_and_b64 s[54:55], s[4:5], s[10:11]
	v_cmp_gt_i32_e64 s[4:5], s22, v9
	s_and_b64 s[6:7], vcc, s[6:7]
	s_and_b64 s[6:7], s[6:7], s[4:5]
	v_or_b32_e32 v12, v16, v7
	v_or_b32_e32 v25, v16, v10
	;; [unrolled: 1-line block ×3, first 2 shown]
	s_and_b64 s[56:57], s[6:7], s[10:11]
	v_cmp_lt_i32_e64 s[6:7], -1, v16
	v_or_b32_e32 v20, v5, v9
	s_and_b64 s[6:7], s[0:1], s[6:7]
	s_and_b64 s[6:7], s[6:7], s[4:5]
	v_or_b32_e32 v16, v20, v7
	v_or_b32_e32 v26, v20, v10
	;; [unrolled: 1-line block ×4, first 2 shown]
	s_and_b64 s[58:59], s[6:7], s[10:11]
	v_cmp_lt_i32_e64 s[6:7], -1, v20
	s_and_b64 s[6:7], s[2:3], s[6:7]
	v_or_b32_e32 v27, v11, v8
	s_and_b64 s[6:7], s[6:7], s[4:5]
	v_cmp_lt_i32_e64 s[12:13], -1, v27
	v_or_b32_e32 v15, v4, v6
	s_and_b64 s[60:61], s[6:7], s[10:11]
	v_cmp_gt_i32_e64 s[6:7], s22, v6
	s_and_b64 s[12:13], vcc, s[12:13]
	s_and_b64 s[12:13], s[12:13], s[6:7]
	v_or_b32_e32 v28, v15, v8
	s_and_b64 s[62:63], s[12:13], s[10:11]
	v_cmp_lt_i32_e64 s[12:13], -1, v28
	v_or_b32_e32 v19, v5, v6
	s_and_b64 s[12:13], s[0:1], s[12:13]
	s_and_b64 s[12:13], s[12:13], s[6:7]
	v_or_b32_e32 v29, v19, v8
	s_and_b64 s[64:65], s[12:13], s[10:11]
	v_cmp_lt_i32_e64 s[12:13], -1, v29
	s_and_b64 s[12:13], s[2:3], s[12:13]
	s_and_b64 s[12:13], s[12:13], s[6:7]
	;; [unrolled: 1-line block ×3, first 2 shown]
	v_cmp_lt_i32_e64 s[12:13], -1, v14
	s_and_b64 s[82:83], vcc, s[8:9]
	v_cmp_gt_i32_e64 s[10:11], s21, v10
	s_and_b64 s[12:13], s[82:83], s[12:13]
	s_and_b64 s[68:69], s[12:13], s[10:11]
	v_cmp_lt_i32_e64 s[12:13], -1, v18
	s_and_b64 s[84:85], s[0:1], s[8:9]
	s_and_b64 s[12:13], s[84:85], s[12:13]
	;; [unrolled: 1-line block ×3, first 2 shown]
	v_cmp_lt_i32_e64 s[12:13], -1, v23
	s_and_b64 s[86:87], s[2:3], s[8:9]
	s_and_b64 s[8:9], s[86:87], s[12:13]
	;; [unrolled: 1-line block ×3, first 2 shown]
	v_cmp_lt_i32_e64 s[8:9], -1, v24
	s_and_b64 s[8:9], vcc, s[8:9]
	s_and_b64 s[8:9], s[8:9], s[4:5]
	s_and_b64 s[72:73], s[8:9], s[10:11]
	v_cmp_lt_i32_e64 s[8:9], -1, v25
	s_and_b64 s[8:9], s[0:1], s[8:9]
	s_and_b64 s[8:9], s[8:9], s[4:5]
	;; [unrolled: 1-line block ×3, first 2 shown]
	v_cmp_lt_i32_e64 s[8:9], -1, v26
	s_and_b64 s[8:9], s[2:3], s[8:9]
	v_or_b32_e32 v20, v11, v10
	s_and_b64 s[8:9], s[8:9], s[4:5]
	s_and_b64 s[76:77], s[8:9], s[10:11]
	v_cmp_lt_i32_e64 s[8:9], -1, v20
	s_and_b64 s[8:9], vcc, s[8:9]
	v_or_b32_e32 v27, v15, v10
	s_and_b64 s[8:9], s[8:9], s[6:7]
	s_and_b64 s[78:79], s[8:9], s[10:11]
	v_cmp_lt_i32_e64 s[8:9], -1, v27
	s_and_b64 s[8:9], s[0:1], s[8:9]
	v_or_b32_e32 v28, v19, v10
	s_and_b64 s[8:9], s[8:9], s[6:7]
	s_and_b64 s[80:81], s[8:9], s[10:11]
	v_cmp_lt_i32_e64 s[8:9], -1, v28
	s_and_b64 s[8:9], s[2:3], s[8:9]
	s_and_b64 s[8:9], s[8:9], s[6:7]
	;; [unrolled: 1-line block ×3, first 2 shown]
	v_cmp_lt_i32_e64 s[8:9], -1, v13
	s_and_b64 s[82:83], s[82:83], s[8:9]
	v_cmp_lt_i32_e64 s[8:9], -1, v17
	s_and_b64 s[84:85], s[84:85], s[8:9]
	;; [unrolled: 2-line block ×3, first 2 shown]
	v_cmp_lt_i32_e64 s[8:9], -1, v21
	s_and_b64 s[8:9], vcc, s[8:9]
	s_and_b64 s[88:89], s[8:9], s[4:5]
	v_cmp_lt_i32_e64 s[8:9], -1, v12
	s_and_b64 s[8:9], s[0:1], s[8:9]
	s_and_b64 s[90:91], s[8:9], s[4:5]
	v_cmp_lt_i32_e64 s[8:9], -1, v16
	s_and_b64 s[8:9], s[2:3], s[8:9]
	v_or_b32_e32 v11, v11, v7
	s_and_b64 s[92:93], s[8:9], s[4:5]
	v_cmp_lt_i32_e64 s[4:5], -1, v11
	v_or_b32_e32 v11, v15, v7
	s_and_b64 s[4:5], vcc, s[4:5]
	v_cmp_lt_i32_e32 vcc, -1, v11
	v_or_b32_e32 v11, v19, v7
	s_and_b64 s[0:1], s[0:1], vcc
	v_cmp_lt_i32_e32 vcc, -1, v11
	v_mul_lo_u32 v11, v8, s22
	v_add_u32_e32 v8, v1, v11
	v_mul_lo_u32 v13, v8, s23
	v_add_u32_e32 v8, v0, v13
	v_add_u32_e32 v12, v4, v13
	v_add_u32_e32 v14, v5, v13
	v_add_u32_e32 v13, v9, v11
	v_add_u32_e32 v11, v6, v11
	v_mul_lo_u32 v11, v11, s23
	v_add_u32_e32 v22, v0, v11
	v_add_u32_e32 v24, v4, v11
	;; [unrolled: 1-line block ×3, first 2 shown]
	v_mul_lo_u32 v11, v10, s22
	v_mul_lo_u32 v13, v13, s23
	v_add_u32_e32 v10, v1, v11
	v_add_u32_e32 v16, v0, v13
	;; [unrolled: 1-line block ×4, first 2 shown]
	v_mul_lo_u32 v13, v10, s23
	v_add_u32_e32 v10, v0, v13
	v_add_u32_e32 v28, v4, v13
	;; [unrolled: 1-line block ×5, first 2 shown]
	v_mul_lo_u32 v11, v11, s23
	v_add_u32_e32 v38, v0, v11
	v_add_u32_e32 v40, v4, v11
	;; [unrolled: 1-line block ×3, first 2 shown]
	v_mul_lo_u32 v11, v7, s22
	v_add_u32_e32 v1, v1, v11
	v_mul_lo_u32 v1, v1, s23
	v_add_u32_e32 v44, v0, v1
	v_add_u32_e32 v46, v4, v1
	v_add_u32_e32 v48, v5, v1
	v_add_u32_e32 v1, v9, v11
	v_ashrrev_i32_e32 v9, 31, v8
	v_mul_lo_u32 v13, v13, s23
	v_lshlrev_b64 v[8:9], 3, v[8:9]
	v_add_u32_e32 v32, v0, v13
	v_add_u32_e32 v34, v4, v13
	;; [unrolled: 1-line block ×3, first 2 shown]
	v_ashrrev_i32_e32 v13, 31, v12
	buffer_store_dword v8, off, s[96:99], 0 ; 4-byte Folded Spill
	s_nop 0
	buffer_store_dword v9, off, s[96:99], 0 offset:4 ; 4-byte Folded Spill
	v_lshlrev_b64 v[8:9], 3, v[12:13]
	v_ashrrev_i32_e32 v15, 31, v14
	buffer_store_dword v8, off, s[96:99], 0 offset:8 ; 4-byte Folded Spill
	s_nop 0
	buffer_store_dword v9, off, s[96:99], 0 offset:12 ; 4-byte Folded Spill
	v_lshlrev_b64 v[8:9], 3, v[14:15]
	v_ashrrev_i32_e32 v17, 31, v16
	buffer_store_dword v8, off, s[96:99], 0 offset:16 ; 4-byte Folded Spill
	;; [unrolled: 5-line block ×7, first 2 shown]
	s_nop 0
	buffer_store_dword v9, off, s[96:99], 0 offset:60 ; 4-byte Folded Spill
	v_lshlrev_b64 v[8:9], 3, v[26:27]
	v_add_u32_e32 v6, v6, v11
	v_ashrrev_i32_e32 v11, 31, v10
	buffer_store_dword v8, off, s[96:99], 0 offset:64 ; 4-byte Folded Spill
	s_nop 0
	buffer_store_dword v9, off, s[96:99], 0 offset:68 ; 4-byte Folded Spill
	v_lshlrev_b64 v[8:9], 3, v[10:11]
	v_ashrrev_i32_e32 v29, 31, v28
	buffer_store_dword v8, off, s[96:99], 0 offset:72 ; 4-byte Folded Spill
	s_nop 0
	buffer_store_dword v9, off, s[96:99], 0 offset:76 ; 4-byte Folded Spill
	v_lshlrev_b64 v[8:9], 3, v[28:29]
	;; [unrolled: 5-line block ×10, first 2 shown]
	v_mul_lo_u32 v1, v1, s23
	v_mul_lo_u32 v51, v6, s23
	v_ashrrev_i32_e32 v47, 31, v46
	buffer_store_dword v8, off, s[96:99], 0 offset:144 ; 4-byte Folded Spill
	s_nop 0
	buffer_store_dword v9, off, s[96:99], 0 offset:148 ; 4-byte Folded Spill
	v_add_u32_e32 v54, v0, v51
	v_add_u32_e32 v0, v0, v1
	v_lshlrev_b64 v[8:9], 3, v[46:47]
	v_add_u32_e32 v52, v4, v1
	v_add_u32_e32 v6, v5, v1
	v_ashrrev_i32_e32 v49, 31, v48
	v_ashrrev_i32_e32 v1, 31, v0
	buffer_store_dword v8, off, s[96:99], 0 offset:152 ; 4-byte Folded Spill
	s_nop 0
	buffer_store_dword v9, off, s[96:99], 0 offset:156 ; 4-byte Folded Spill
	v_lshlrev_b64 v[8:9], 3, v[48:49]
	v_lshlrev_b64 v[0:1], 3, v[0:1]
	v_ashrrev_i32_e32 v53, 31, v52
	buffer_store_dword v8, off, s[96:99], 0 offset:160 ; 4-byte Folded Spill
	s_nop 0
	buffer_store_dword v9, off, s[96:99], 0 offset:164 ; 4-byte Folded Spill
	buffer_store_dword v0, off, s[96:99], 0 offset:168 ; 4-byte Folded Spill
	s_nop 0
	buffer_store_dword v1, off, s[96:99], 0 offset:172 ; 4-byte Folded Spill
	v_lshlrev_b64 v[0:1], 3, v[52:53]
	buffer_store_dword v0, off, s[96:99], 0 offset:176 ; 4-byte Folded Spill
	s_nop 0
	buffer_store_dword v1, off, s[96:99], 0 offset:180 ; 4-byte Folded Spill
	buffer_load_dword v0, off, s[96:99], 0 offset:196 ; 4-byte Folded Reload
	s_and_b64 s[2:3], s[2:3], vcc
	s_and_b64 s[14:15], s[0:1], s[6:7]
	v_cmp_gt_i32_e32 vcc, s21, v7
	v_add_u32_e32 v56, v4, v51
	v_add_u32_e32 v4, v5, v51
	s_and_b64 s[42:43], s[4:5], s[6:7]
	s_and_b64 s[24:25], s[2:3], s[6:7]
	s_and_b64 s[4:5], s[86:87], vcc
	v_ashrrev_i32_e32 v7, 31, v6
	v_ashrrev_i32_e32 v55, 31, v54
	s_and_b64 s[86:87], s[14:15], vcc
	v_ashrrev_i32_e32 v57, 31, v56
	v_ashrrev_i32_e32 v5, 31, v4
	s_mul_i32 s14, s41, s20
	s_and_b64 s[0:1], s[82:83], vcc
	s_and_b64 s[2:3], s[84:85], vcc
	;; [unrolled: 1-line block ×7, first 2 shown]
	s_mov_b32 s24, 0
	v_lshlrev_b64 v[52:53], 3, v[6:7]
	v_lshlrev_b64 v[54:55], 3, v[54:55]
	;; [unrolled: 1-line block ×4, first 2 shown]
	s_mov_b32 s92, s20
	v_pk_mov_b32 v[4:5], v[62:63], v[62:63] op_sel:[0,1]
	s_waitcnt vmcnt(0)
	v_mul_lo_u32 v60, s14, v0
	s_branch .LBB14_6
.LBB14_5:                               ;   in Loop: Header=BB14_6 Depth=2
	s_or_b64 exec, exec, s[90:91]
	s_waitcnt vmcnt(26)
	v_fmac_f64_e32 v[4:5], v[64:65], v[66:67]
	s_waitcnt vmcnt(25)
	v_fmac_f64_e32 v[4:5], v[68:69], v[72:73]
	;; [unrolled: 2-line block ×26, first 2 shown]
	v_add_co_u32_e32 v2, vcc, 0xd8, v2
	s_add_i32 s92, s92, -1
	s_waitcnt vmcnt(0)
	v_fmac_f64_e32 v[4:5], v[48:49], v[44:45]
	v_addc_co_u32_e32 v3, vcc, 0, v3, vcc
	s_cmp_eq_u32 s92, 0
	v_add_u32_e32 v60, s41, v60
	s_cbranch_scc1 .LBB14_2
.LBB14_6:                               ;   Parent Loop BB14_3 Depth=1
                                        ; =>  This Inner Loop Header: Depth=2
	global_load_dwordx2 v[64:65], v[2:3], off
	v_ashrrev_i32_e32 v61, 31, v60
	v_lshlrev_b64 v[0:1], 3, v[60:61]
	v_add_co_u32_e32 v51, vcc, v126, v0
	v_addc_co_u32_e32 v61, vcc, v50, v1, vcc
	v_pk_mov_b32 v[66:67], v[62:63], v[62:63] op_sel:[0,1]
	s_and_saveexec_b64 s[90:91], s[50:51]
	s_cbranch_execz .LBB14_8
; %bb.7:                                ;   in Loop: Header=BB14_6 Depth=2
	buffer_load_dword v0, off, s[96:99], 0  ; 4-byte Folded Reload
	buffer_load_dword v1, off, s[96:99], 0 offset:4 ; 4-byte Folded Reload
	s_waitcnt vmcnt(1)
	v_add_co_u32_e32 v0, vcc, v51, v0
	s_waitcnt vmcnt(0)
	v_addc_co_u32_e32 v1, vcc, v61, v1, vcc
	global_load_dwordx2 v[66:67], v[0:1], off
.LBB14_8:                               ;   in Loop: Header=BB14_6 Depth=2
	s_or_b64 exec, exec, s[90:91]
	global_load_dwordx2 v[68:69], v[2:3], off offset:8
	v_pk_mov_b32 v[70:71], 0, 0
	v_pk_mov_b32 v[72:73], v[70:71], v[70:71] op_sel:[0,1]
	s_and_saveexec_b64 s[90:91], s[52:53]
	s_cbranch_execz .LBB14_10
; %bb.9:                                ;   in Loop: Header=BB14_6 Depth=2
	buffer_load_dword v0, off, s[96:99], 0 offset:8 ; 4-byte Folded Reload
	buffer_load_dword v1, off, s[96:99], 0 offset:12 ; 4-byte Folded Reload
	s_waitcnt vmcnt(1)
	v_add_co_u32_e32 v0, vcc, v51, v0
	s_waitcnt vmcnt(0)
	v_addc_co_u32_e32 v1, vcc, v61, v1, vcc
	global_load_dwordx2 v[72:73], v[0:1], off
.LBB14_10:                              ;   in Loop: Header=BB14_6 Depth=2
	s_or_b64 exec, exec, s[90:91]
	global_load_dwordx2 v[74:75], v[2:3], off offset:16
	s_and_saveexec_b64 s[90:91], s[54:55]
	s_cbranch_execz .LBB14_12
; %bb.11:                               ;   in Loop: Header=BB14_6 Depth=2
	buffer_load_dword v0, off, s[96:99], 0 offset:16 ; 4-byte Folded Reload
	buffer_load_dword v1, off, s[96:99], 0 offset:20 ; 4-byte Folded Reload
	s_waitcnt vmcnt(1)
	v_add_co_u32_e32 v0, vcc, v51, v0
	s_waitcnt vmcnt(0)
	v_addc_co_u32_e32 v1, vcc, v61, v1, vcc
	global_load_dwordx2 v[70:71], v[0:1], off
.LBB14_12:                              ;   in Loop: Header=BB14_6 Depth=2
	s_or_b64 exec, exec, s[90:91]
	global_load_dwordx2 v[76:77], v[2:3], off offset:24
	v_pk_mov_b32 v[78:79], 0, 0
	v_pk_mov_b32 v[80:81], v[78:79], v[78:79] op_sel:[0,1]
	s_and_saveexec_b64 s[90:91], s[56:57]
	s_cbranch_execz .LBB14_14
; %bb.13:                               ;   in Loop: Header=BB14_6 Depth=2
	buffer_load_dword v0, off, s[96:99], 0 offset:24 ; 4-byte Folded Reload
	buffer_load_dword v1, off, s[96:99], 0 offset:28 ; 4-byte Folded Reload
	s_waitcnt vmcnt(1)
	v_add_co_u32_e32 v0, vcc, v51, v0
	s_waitcnt vmcnt(0)
	v_addc_co_u32_e32 v1, vcc, v61, v1, vcc
	global_load_dwordx2 v[80:81], v[0:1], off
.LBB14_14:                              ;   in Loop: Header=BB14_6 Depth=2
	s_or_b64 exec, exec, s[90:91]
	global_load_dwordx2 v[82:83], v[2:3], off offset:32
	s_and_saveexec_b64 s[90:91], s[58:59]
	s_cbranch_execz .LBB14_16
; %bb.15:                               ;   in Loop: Header=BB14_6 Depth=2
	buffer_load_dword v0, off, s[96:99], 0 offset:32 ; 4-byte Folded Reload
	buffer_load_dword v1, off, s[96:99], 0 offset:36 ; 4-byte Folded Reload
	s_waitcnt vmcnt(1)
	v_add_co_u32_e32 v0, vcc, v51, v0
	s_waitcnt vmcnt(0)
	v_addc_co_u32_e32 v1, vcc, v61, v1, vcc
	global_load_dwordx2 v[78:79], v[0:1], off
.LBB14_16:                              ;   in Loop: Header=BB14_6 Depth=2
	s_or_b64 exec, exec, s[90:91]
	global_load_dwordx2 v[84:85], v[2:3], off offset:40
	v_pk_mov_b32 v[86:87], 0, 0
	v_pk_mov_b32 v[88:89], v[86:87], v[86:87] op_sel:[0,1]
	s_and_saveexec_b64 s[90:91], s[60:61]
	s_cbranch_execz .LBB14_18
; %bb.17:                               ;   in Loop: Header=BB14_6 Depth=2
	buffer_load_dword v0, off, s[96:99], 0 offset:40 ; 4-byte Folded Reload
	buffer_load_dword v1, off, s[96:99], 0 offset:44 ; 4-byte Folded Reload
	s_waitcnt vmcnt(1)
	v_add_co_u32_e32 v0, vcc, v51, v0
	s_waitcnt vmcnt(0)
	v_addc_co_u32_e32 v1, vcc, v61, v1, vcc
	global_load_dwordx2 v[88:89], v[0:1], off
.LBB14_18:                              ;   in Loop: Header=BB14_6 Depth=2
	;; [unrolled: 28-line block ×10, first 2 shown]
	s_or_b64 exec, exec, s[90:91]
	global_load_dwordx2 v[32:33], v[2:3], off offset:176
	s_and_saveexec_b64 s[90:91], s[8:9]
	s_cbranch_execz .LBB14_52
; %bb.51:                               ;   in Loop: Header=BB14_6 Depth=2
	buffer_load_dword v28, off, s[96:99], 0 offset:176 ; 4-byte Folded Reload
	buffer_load_dword v29, off, s[96:99], 0 offset:180 ; 4-byte Folded Reload
	s_waitcnt vmcnt(1)
	v_add_co_u32_e32 v28, vcc, v51, v28
	s_waitcnt vmcnt(0)
	v_addc_co_u32_e32 v29, vcc, v61, v29, vcc
	global_load_dwordx2 v[28:29], v[28:29], off
.LBB14_52:                              ;   in Loop: Header=BB14_6 Depth=2
	s_or_b64 exec, exec, s[90:91]
	global_load_dwordx2 v[34:35], v[2:3], off offset:184
	v_pk_mov_b32 v[36:37], 0, 0
	v_pk_mov_b32 v[38:39], v[36:37], v[36:37] op_sel:[0,1]
	s_and_saveexec_b64 s[90:91], s[82:83]
	s_cbranch_execz .LBB14_54
; %bb.53:                               ;   in Loop: Header=BB14_6 Depth=2
	v_add_co_u32_e32 v38, vcc, v51, v52
	v_addc_co_u32_e32 v39, vcc, v61, v53, vcc
	global_load_dwordx2 v[38:39], v[38:39], off
.LBB14_54:                              ;   in Loop: Header=BB14_6 Depth=2
	s_or_b64 exec, exec, s[90:91]
	global_load_dwordx2 v[40:41], v[2:3], off offset:192
	s_and_saveexec_b64 s[90:91], s[84:85]
	s_cbranch_execz .LBB14_56
; %bb.55:                               ;   in Loop: Header=BB14_6 Depth=2
	v_add_co_u32_e32 v36, vcc, v51, v54
	v_addc_co_u32_e32 v37, vcc, v61, v55, vcc
	global_load_dwordx2 v[36:37], v[36:37], off
.LBB14_56:                              ;   in Loop: Header=BB14_6 Depth=2
	s_or_b64 exec, exec, s[90:91]
	global_load_dwordx2 v[42:43], v[2:3], off offset:200
	v_pk_mov_b32 v[44:45], 0, 0
	v_pk_mov_b32 v[46:47], v[44:45], v[44:45] op_sel:[0,1]
	s_and_saveexec_b64 s[90:91], s[86:87]
	s_cbranch_execz .LBB14_58
; %bb.57:                               ;   in Loop: Header=BB14_6 Depth=2
	v_add_co_u32_e32 v46, vcc, v51, v56
	v_addc_co_u32_e32 v47, vcc, v61, v57, vcc
	global_load_dwordx2 v[46:47], v[46:47], off
.LBB14_58:                              ;   in Loop: Header=BB14_6 Depth=2
	s_or_b64 exec, exec, s[90:91]
	global_load_dwordx2 v[48:49], v[2:3], off offset:208
	s_and_saveexec_b64 s[90:91], s[88:89]
	s_cbranch_execz .LBB14_5
; %bb.59:                               ;   in Loop: Header=BB14_6 Depth=2
	v_add_co_u32_e32 v44, vcc, v51, v58
	v_addc_co_u32_e32 v45, vcc, v61, v59, vcc
	global_load_dwordx2 v[44:45], v[44:45], off
	s_branch .LBB14_5
.LBB14_60:
	s_endpgm
	.section	.rodata,"a",@progbits
	.p2align	6, 0x0
	.amdhsa_kernel _ZN2at6native12_GLOBAL__N_143conv_depthwise3d_cuda_backward_input_kernelIddLi3ELi3ELi3ELin1ELin1ELin1ELi1ELi1ELi1EEEvN5torch10headeronly6detail27GenericPackedTensorAccessorINS5_14TensorAccessorIN3c108ArrayRefIlEEKT_Lm4ENS4_16DefaultPtrTraitsEiEENS_6detail16IndexBoundsCheckILm5EiEESC_Lm5ESD_iEENS6_INS7_ISA_SB_Lm4ESD_iEESH_SB_Lm5ESD_iEESI_iiiiiiiii
		.amdhsa_group_segment_fixed_size 0
		.amdhsa_private_segment_fixed_size 232
		.amdhsa_kernarg_size 440
		.amdhsa_user_sgpr_count 6
		.amdhsa_user_sgpr_private_segment_buffer 1
		.amdhsa_user_sgpr_dispatch_ptr 0
		.amdhsa_user_sgpr_queue_ptr 0
		.amdhsa_user_sgpr_kernarg_segment_ptr 1
		.amdhsa_user_sgpr_dispatch_id 0
		.amdhsa_user_sgpr_flat_scratch_init 0
		.amdhsa_user_sgpr_kernarg_preload_length 0
		.amdhsa_user_sgpr_kernarg_preload_offset 0
		.amdhsa_user_sgpr_private_segment_size 0
		.amdhsa_uses_dynamic_stack 0
		.amdhsa_system_sgpr_private_segment_wavefront_offset 1
		.amdhsa_system_sgpr_workgroup_id_x 1
		.amdhsa_system_sgpr_workgroup_id_y 0
		.amdhsa_system_sgpr_workgroup_id_z 0
		.amdhsa_system_sgpr_workgroup_info 0
		.amdhsa_system_vgpr_workitem_id 0
		.amdhsa_next_free_vgpr 128
		.amdhsa_next_free_sgpr 100
		.amdhsa_accum_offset 128
		.amdhsa_reserve_vcc 1
		.amdhsa_reserve_flat_scratch 0
		.amdhsa_float_round_mode_32 0
		.amdhsa_float_round_mode_16_64 0
		.amdhsa_float_denorm_mode_32 3
		.amdhsa_float_denorm_mode_16_64 3
		.amdhsa_dx10_clamp 1
		.amdhsa_ieee_mode 1
		.amdhsa_fp16_overflow 0
		.amdhsa_tg_split 0
		.amdhsa_exception_fp_ieee_invalid_op 0
		.amdhsa_exception_fp_denorm_src 0
		.amdhsa_exception_fp_ieee_div_zero 0
		.amdhsa_exception_fp_ieee_overflow 0
		.amdhsa_exception_fp_ieee_underflow 0
		.amdhsa_exception_fp_ieee_inexact 0
		.amdhsa_exception_int_div_zero 0
	.end_amdhsa_kernel
	.section	.text._ZN2at6native12_GLOBAL__N_143conv_depthwise3d_cuda_backward_input_kernelIddLi3ELi3ELi3ELin1ELin1ELin1ELi1ELi1ELi1EEEvN5torch10headeronly6detail27GenericPackedTensorAccessorINS5_14TensorAccessorIN3c108ArrayRefIlEEKT_Lm4ENS4_16DefaultPtrTraitsEiEENS_6detail16IndexBoundsCheckILm5EiEESC_Lm5ESD_iEENS6_INS7_ISA_SB_Lm4ESD_iEESH_SB_Lm5ESD_iEESI_iiiiiiiii,"axG",@progbits,_ZN2at6native12_GLOBAL__N_143conv_depthwise3d_cuda_backward_input_kernelIddLi3ELi3ELi3ELin1ELin1ELin1ELi1ELi1ELi1EEEvN5torch10headeronly6detail27GenericPackedTensorAccessorINS5_14TensorAccessorIN3c108ArrayRefIlEEKT_Lm4ENS4_16DefaultPtrTraitsEiEENS_6detail16IndexBoundsCheckILm5EiEESC_Lm5ESD_iEENS6_INS7_ISA_SB_Lm4ESD_iEESH_SB_Lm5ESD_iEESI_iiiiiiiii,comdat
.Lfunc_end14:
	.size	_ZN2at6native12_GLOBAL__N_143conv_depthwise3d_cuda_backward_input_kernelIddLi3ELi3ELi3ELin1ELin1ELin1ELi1ELi1ELi1EEEvN5torch10headeronly6detail27GenericPackedTensorAccessorINS5_14TensorAccessorIN3c108ArrayRefIlEEKT_Lm4ENS4_16DefaultPtrTraitsEiEENS_6detail16IndexBoundsCheckILm5EiEESC_Lm5ESD_iEENS6_INS7_ISA_SB_Lm4ESD_iEESH_SB_Lm5ESD_iEESI_iiiiiiiii, .Lfunc_end14-_ZN2at6native12_GLOBAL__N_143conv_depthwise3d_cuda_backward_input_kernelIddLi3ELi3ELi3ELin1ELin1ELin1ELi1ELi1ELi1EEEvN5torch10headeronly6detail27GenericPackedTensorAccessorINS5_14TensorAccessorIN3c108ArrayRefIlEEKT_Lm4ENS4_16DefaultPtrTraitsEiEENS_6detail16IndexBoundsCheckILm5EiEESC_Lm5ESD_iEENS6_INS7_ISA_SB_Lm4ESD_iEESH_SB_Lm5ESD_iEESI_iiiiiiiii
                                        ; -- End function
	.section	.AMDGPU.csdata,"",@progbits
; Kernel info:
; codeLenInByte = 5516
; NumSgprs: 104
; NumVgprs: 128
; NumAgprs: 0
; TotalNumVgprs: 128
; ScratchSize: 232
; MemoryBound: 0
; FloatMode: 240
; IeeeMode: 1
; LDSByteSize: 0 bytes/workgroup (compile time only)
; SGPRBlocks: 12
; VGPRBlocks: 15
; NumSGPRsForWavesPerEU: 104
; NumVGPRsForWavesPerEU: 128
; AccumOffset: 128
; Occupancy: 4
; WaveLimiterHint : 0
; COMPUTE_PGM_RSRC2:SCRATCH_EN: 1
; COMPUTE_PGM_RSRC2:USER_SGPR: 6
; COMPUTE_PGM_RSRC2:TRAP_HANDLER: 0
; COMPUTE_PGM_RSRC2:TGID_X_EN: 1
; COMPUTE_PGM_RSRC2:TGID_Y_EN: 0
; COMPUTE_PGM_RSRC2:TGID_Z_EN: 0
; COMPUTE_PGM_RSRC2:TIDIG_COMP_CNT: 0
; COMPUTE_PGM_RSRC3_GFX90A:ACCUM_OFFSET: 31
; COMPUTE_PGM_RSRC3_GFX90A:TG_SPLIT: 0
	.section	.text._ZN2at6native12_GLOBAL__N_143conv_depthwise3d_cuda_backward_input_kernelIddLi3ELi3ELi3ELin1ELin1ELin1ELin1ELin1ELin1EEEvN5torch10headeronly6detail27GenericPackedTensorAccessorINS5_14TensorAccessorIN3c108ArrayRefIlEEKT_Lm4ENS4_16DefaultPtrTraitsEiEENS_6detail16IndexBoundsCheckILm5EiEESC_Lm5ESD_iEENS6_INS7_ISA_SB_Lm4ESD_iEESH_SB_Lm5ESD_iEESI_iiiiiiiii,"axG",@progbits,_ZN2at6native12_GLOBAL__N_143conv_depthwise3d_cuda_backward_input_kernelIddLi3ELi3ELi3ELin1ELin1ELin1ELin1ELin1ELin1EEEvN5torch10headeronly6detail27GenericPackedTensorAccessorINS5_14TensorAccessorIN3c108ArrayRefIlEEKT_Lm4ENS4_16DefaultPtrTraitsEiEENS_6detail16IndexBoundsCheckILm5EiEESC_Lm5ESD_iEENS6_INS7_ISA_SB_Lm4ESD_iEESH_SB_Lm5ESD_iEESI_iiiiiiiii,comdat
	.globl	_ZN2at6native12_GLOBAL__N_143conv_depthwise3d_cuda_backward_input_kernelIddLi3ELi3ELi3ELin1ELin1ELin1ELin1ELin1ELin1EEEvN5torch10headeronly6detail27GenericPackedTensorAccessorINS5_14TensorAccessorIN3c108ArrayRefIlEEKT_Lm4ENS4_16DefaultPtrTraitsEiEENS_6detail16IndexBoundsCheckILm5EiEESC_Lm5ESD_iEENS6_INS7_ISA_SB_Lm4ESD_iEESH_SB_Lm5ESD_iEESI_iiiiiiiii ; -- Begin function _ZN2at6native12_GLOBAL__N_143conv_depthwise3d_cuda_backward_input_kernelIddLi3ELi3ELi3ELin1ELin1ELin1ELin1ELin1ELin1EEEvN5torch10headeronly6detail27GenericPackedTensorAccessorINS5_14TensorAccessorIN3c108ArrayRefIlEEKT_Lm4ENS4_16DefaultPtrTraitsEiEENS_6detail16IndexBoundsCheckILm5EiEESC_Lm5ESD_iEENS6_INS7_ISA_SB_Lm4ESD_iEESH_SB_Lm5ESD_iEESI_iiiiiiiii
	.p2align	8
	.type	_ZN2at6native12_GLOBAL__N_143conv_depthwise3d_cuda_backward_input_kernelIddLi3ELi3ELi3ELin1ELin1ELin1ELin1ELin1ELin1EEEvN5torch10headeronly6detail27GenericPackedTensorAccessorINS5_14TensorAccessorIN3c108ArrayRefIlEEKT_Lm4ENS4_16DefaultPtrTraitsEiEENS_6detail16IndexBoundsCheckILm5EiEESC_Lm5ESD_iEENS6_INS7_ISA_SB_Lm4ESD_iEESH_SB_Lm5ESD_iEESI_iiiiiiiii,@function
_ZN2at6native12_GLOBAL__N_143conv_depthwise3d_cuda_backward_input_kernelIddLi3ELi3ELi3ELin1ELin1ELin1ELin1ELin1ELin1EEEvN5torch10headeronly6detail27GenericPackedTensorAccessorINS5_14TensorAccessorIN3c108ArrayRefIlEEKT_Lm4ENS4_16DefaultPtrTraitsEiEENS_6detail16IndexBoundsCheckILm5EiEESC_Lm5ESD_iEENS6_INS7_ISA_SB_Lm4ESD_iEESH_SB_Lm5ESD_iEESI_iiiiiiiii: ; @_ZN2at6native12_GLOBAL__N_143conv_depthwise3d_cuda_backward_input_kernelIddLi3ELi3ELi3ELin1ELin1ELin1ELin1ELin1ELin1EEEvN5torch10headeronly6detail27GenericPackedTensorAccessorINS5_14TensorAccessorIN3c108ArrayRefIlEEKT_Lm4ENS4_16DefaultPtrTraitsEiEENS_6detail16IndexBoundsCheckILm5EiEESC_Lm5ESD_iEENS6_INS7_ISA_SB_Lm4ESD_iEESH_SB_Lm5ESD_iEESI_iiiiiiiii
; %bb.0:
	s_load_dwordx4 s[12:15], s[4:5], 0x38
	s_load_dwordx2 s[16:17], s[4:5], 0x48
	s_mov_b64 s[98:99], s[2:3]
	s_mov_b64 s[96:97], s[0:1]
	s_add_u32 s96, s96, s7
	s_addc_u32 s97, s97, 0
	s_waitcnt lgkmcnt(0)
	s_abs_i32 s0, s13
	v_cvt_f32_u32_e32 v2, s0
	s_load_dword s2, s[4:5], 0xc4
                                        ; implicit-def: $vgpr126 : SGPR spill to VGPR lane
	s_mul_i32 s8, s17, s12
	v_writelane_b32 v126, s0, 0
	v_rcp_iflag_f32_e32 v2, v2
	s_add_u32 s0, s4, 0xb8
	v_mov_b32_e32 v1, 0
	v_mov_b32_e32 v3, s6
	v_mul_f32_e32 v2, 0x4f7ffffe, v2
	v_cvt_u32_f32_e32 v2, v2
	s_addc_u32 s1, s5, 0
	s_waitcnt lgkmcnt(0)
	s_and_b32 s2, s2, 0xffff
	s_ashr_i32 s9, s8, 31
	v_mad_u64_u32 v[4:5], s[6:7], s2, v3, v[0:1]
	v_writelane_b32 v126, s8, 1
	v_readfirstlane_b32 s3, v2
	v_writelane_b32 v126, s9, 2
	v_cmp_gt_i64_e32 vcc, s[8:9], v[4:5]
	s_and_saveexec_b64 s[6:7], vcc
	s_cbranch_execz .LBB15_61
; %bb.1:
	s_load_dwordx4 s[8:11], s[4:5], 0xc
	s_load_dwordx2 s[6:7], s[4:5], 0x0
	s_ashr_i32 s12, s13, 31
	s_load_dwordx8 s[20:27], s[4:5], 0x90
	s_load_dword s18, s[4:5], 0xb0
                                        ; kill: killed $sgpr0 killed $sgpr1
                                        ; kill: killed $sgpr4 killed $sgpr5
	s_load_dwordx4 s[28:31], s[4:5], 0x50
	s_waitcnt lgkmcnt(0)
	v_writelane_b32 v126, s6, 3
	v_writelane_b32 v126, s7, 4
	s_ashr_i32 s6, s8, 31
	v_writelane_b32 v126, s8, 5
	v_writelane_b32 v126, s9, 6
	;; [unrolled: 1-line block ×4, first 2 shown]
	v_readlane_b32 s11, v126, 0
	s_abs_i32 s7, s8
	s_sub_i32 s8, 0, s11
	s_mul_i32 s9, s8, s3
	s_mul_hi_u32 s9, s3, s9
	s_add_i32 s3, s3, s9
	s_mul_hi_u32 s3, s7, s3
	s_mul_i32 s9, s3, s11
	s_sub_i32 s7, s7, s9
	s_xor_b32 s6, s6, s12
	s_add_i32 s9, s3, 1
	s_sub_i32 s10, s7, s11
	s_cmp_ge_u32 s7, s11
	s_cselect_b32 s3, s9, s3
	s_cselect_b32 s7, s10, s7
	s_add_i32 s9, s3, 1
	s_cmp_ge_u32 s7, s11
	s_cselect_b32 s3, s9, s3
	s_xor_b32 s3, s3, s6
	s_sub_i32 s33, s3, s6
	s_load_dword s3, s[0:1], 0x0
	s_load_dword s6, s[4:5], 0x7c
	v_writelane_b32 v126, s12, 9
	s_abs_i32 s0, s16
	v_cvt_f32_u32_e32 v0, s0
	s_waitcnt lgkmcnt(0)
	s_mul_i32 s1, s3, s2
	v_writelane_b32 v126, s6, 10
	s_load_dwordx2 s[74:75], s[4:5], 0x1c
	s_load_dwordx2 s[6:7], s[4:5], 0x30
	v_rcp_iflag_f32_e32 v0, v0
	s_abs_i32 s2, s14
	s_waitcnt lgkmcnt(0)
	v_writelane_b32 v126, s6, 11
	v_writelane_b32 v126, s7, 12
	s_load_dwordx2 s[6:7], s[4:5], 0x60
	v_mul_f32_e32 v0, 0x4f7ffffe, v0
	v_cvt_u32_f32_e32 v0, v0
	s_mov_b64 s[4:5], 0
	s_waitcnt lgkmcnt(0)
	v_writelane_b32 v126, s6, 13
	v_writelane_b32 v126, s7, 14
	;; [unrolled: 1-line block ×8, first 2 shown]
	s_lshl_b32 s1, s18, 1
	v_writelane_b32 v126, s1, 21
	s_lshl_b32 s1, s27, 1
	v_writelane_b32 v126, s1, 22
	;; [unrolled: 2-line block ×3, first 2 shown]
	s_ashr_i32 s1, s16, 31
	v_writelane_b32 v126, s1, 24
	s_abs_i32 s1, s15
	v_writelane_b32 v126, s0, 25
	s_sub_i32 s0, 0, s0
	v_cvt_f32_u32_e32 v1, s1
	v_mul_lo_u32 v3, s0, v0
	v_mul_hi_u32 v3, v0, v3
	v_add_u32_e32 v0, v0, v3
	buffer_store_dword v0, off, s[96:99], 0 offset:200 ; 4-byte Folded Spill
	v_cvt_f32_u32_e32 v0, s2
	v_rcp_iflag_f32_e32 v1, v1
	s_ashr_i32 s0, s15, 31
	v_writelane_b32 v126, s0, 26
	v_rcp_iflag_f32_e32 v0, v0
	v_mul_f32_e32 v1, 0x4f7ffffe, v1
	v_cvt_u32_f32_e32 v1, v1
	s_sub_i32 s0, 0, s1
	v_mul_f32_e32 v0, 0x4f7ffffe, v0
	v_cvt_u32_f32_e32 v0, v0
	v_mul_lo_u32 v3, s0, v1
	v_writelane_b32 v126, s1, 27
	v_mul_hi_u32 v3, v1, v3
	s_ashr_i32 s0, s14, 31
	v_add_u32_e32 v1, v1, v3
	v_writelane_b32 v126, s0, 28
	s_sub_i32 s0, 0, s2
	buffer_store_dword v1, off, s[96:99], 0 offset:204 ; 4-byte Folded Spill
	v_mul_lo_u32 v1, s0, v0
	s_abs_i32 s0, s20
	v_cvt_f32_u32_e32 v3, s0
	v_mul_hi_u32 v1, v0, v1
	v_add_u32_e32 v0, v0, v1
	buffer_store_dword v0, off, s[96:99], 0 offset:208 ; 4-byte Folded Spill
	v_rcp_iflag_f32_e32 v1, v3
	v_mul_lo_u32 v0, s8, v2
	v_mul_hi_u32 v0, v2, v0
	v_add_u32_e32 v0, v2, v0
	buffer_store_dword v0, off, s[96:99], 0 offset:212 ; 4-byte Folded Spill
	v_mul_f32_e32 v0, 0x4f7ffffe, v1
	v_cvt_u32_f32_e32 v0, v0
	v_writelane_b32 v126, s2, 29
	s_ashr_i32 s1, s20, 31
	v_writelane_b32 v126, s1, 30
	s_abs_i32 s1, s21
	v_writelane_b32 v126, s0, 31
	s_sub_i32 s0, 0, s0
	v_cvt_f32_u32_e32 v1, s1
	v_mul_lo_u32 v2, s0, v0
	v_mul_hi_u32 v2, v0, v2
	v_add_u32_e32 v0, v0, v2
	s_abs_i32 s2, s22
	buffer_store_dword v0, off, s[96:99], 0 offset:236 ; 4-byte Folded Spill
	v_cvt_f32_u32_e32 v0, s2
	v_rcp_iflag_f32_e32 v1, v1
	s_ashr_i32 s0, s21, 31
	v_writelane_b32 v126, s0, 32
	v_writelane_b32 v126, s1, 33
	v_rcp_iflag_f32_e32 v0, v0
	v_writelane_b32 v126, s20, 34
	v_mul_f32_e32 v1, 0x4f7ffffe, v1
	v_writelane_b32 v126, s21, 35
	v_cvt_u32_f32_e32 v1, v1
	v_writelane_b32 v126, s22, 36
	v_writelane_b32 v126, s23, 37
	v_mul_f32_e32 v0, 0x4f7ffffe, v0
	v_writelane_b32 v126, s24, 38
	s_sub_i32 s0, 0, s1
	v_cvt_u32_f32_e32 v0, v0
	v_writelane_b32 v126, s25, 39
	v_mul_lo_u32 v2, s0, v1
	v_writelane_b32 v126, s26, 40
	v_mul_hi_u32 v2, v1, v2
	v_writelane_b32 v126, s27, 41
	s_ashr_i32 s0, s22, 31
	v_add_u32_e32 v1, v1, v2
	v_writelane_b32 v126, s0, 42
	s_sub_i32 s0, 0, s2
	buffer_store_dword v1, off, s[96:99], 0 offset:240 ; 4-byte Folded Spill
	v_writelane_b32 v126, s2, 43
	v_mul_lo_u32 v1, s0, v0
	s_mul_i32 s0, s75, s33
	v_writelane_b32 v126, s0, 44
	v_writelane_b32 v126, s12, 45
	;; [unrolled: 1-line block ×7, first 2 shown]
	v_mul_hi_u32 v1, v0, v1
	v_writelane_b32 v126, s74, 51
	v_add_u32_e32 v0, v0, v1
	v_writelane_b32 v126, s75, 52
	buffer_store_dword v0, off, s[96:99], 0 offset:244 ; 4-byte Folded Spill
	s_branch .LBB15_4
.LBB15_2:                               ;   in Loop: Header=BB15_4 Depth=1
	buffer_load_dword v5, off, s[96:99], 0 offset:216 ; 4-byte Folded Reload
	buffer_load_dword v6, off, s[96:99], 0 offset:220 ; 4-byte Folded Reload
	;; [unrolled: 1-line block ×5, first 2 shown]
	v_readlane_b32 s12, v126, 45
	v_readlane_b32 s16, v126, 49
	;; [unrolled: 1-line block ×6, first 2 shown]
	s_mov_b32 s33, s72
.LBB15_3:                               ;   in Loop: Header=BB15_4 Depth=1
	v_readlane_b32 s0, v126, 55
	v_readlane_b32 s1, v126, 56
	s_or_b64 exec, exec, s[0:1]
	s_waitcnt vmcnt(0)
	v_mul_lo_u32 v0, v4, s17
	v_ashrrev_i32_e32 v1, 31, v0
	v_readlane_b32 s0, v126, 11
	v_lshlrev_b64 v[0:1], 3, v[0:1]
	v_readlane_b32 s1, v126, 12
	v_mov_b32_e32 v2, s1
	v_add_co_u32_e32 v3, vcc, s0, v0
	v_readlane_b32 s0, v126, 15
	v_mul_lo_u32 v0, s0, v60
	v_addc_co_u32_e32 v2, vcc, v2, v1, vcc
	v_ashrrev_i32_e32 v1, 31, v0
	v_readlane_b32 s1, v126, 16
	v_lshlrev_b64 v[0:1], 3, v[0:1]
	v_add_co_u32_e32 v3, vcc, v3, v0
	v_mul_lo_u32 v0, s1, v7
	v_addc_co_u32_e32 v2, vcc, v2, v1, vcc
	v_ashrrev_i32_e32 v1, 31, v0
	v_readlane_b32 s2, v126, 17
	v_lshlrev_b64 v[0:1], 3, v[0:1]
	v_add_co_u32_e32 v3, vcc, v3, v0
	;; [unrolled: 6-line block ×3, first 2 shown]
	v_mul_lo_u32 v0, s3, v5
	buffer_load_dword v4, off, s[96:99], 0 offset:192 ; 4-byte Folded Reload
	buffer_load_dword v5, off, s[96:99], 0 offset:196 ; 4-byte Folded Reload
	v_addc_co_u32_e32 v2, vcc, v2, v1, vcc
	v_ashrrev_i32_e32 v1, 31, v0
	v_lshlrev_b64 v[0:1], 3, v[0:1]
	v_add_co_u32_e32 v0, vcc, v3, v0
	s_mov_b32 s0, 0
	v_addc_co_u32_e32 v1, vcc, v2, v1, vcc
	v_mov_b32_e32 v2, s0
	v_readlane_b32 s0, v126, 19
	v_readlane_b32 s4, v126, 53
	;; [unrolled: 1-line block ×3, first 2 shown]
	global_store_dwordx2 v[0:1], v[62:63], off
	s_waitcnt vmcnt(2)
	v_add_co_u32_e32 v4, vcc, s0, v4
	v_readlane_b32 s0, v126, 1
	s_waitcnt vmcnt(1)
	v_addc_co_u32_e32 v5, vcc, v5, v2, vcc
	v_readlane_b32 s1, v126, 2
	v_cmp_le_i64_e32 vcc, s[0:1], v[4:5]
	s_or_b64 s[4:5], vcc, s[4:5]
	s_andn2_b64 exec, exec, s[4:5]
	s_cbranch_execz .LBB15_61
.LBB15_4:                               ; =>This Loop Header: Depth=1
                                        ;     Child Loop BB15_7 Depth 2
	buffer_load_dword v2, off, s[96:99], 0 offset:200 ; 4-byte Folded Reload
	v_writelane_b32 v126, s4, 53
	v_writelane_b32 v126, s5, 54
	v_sub_u32_e32 v1, 0, v4
	v_ashrrev_i32_e32 v0, 31, v4
	v_readlane_b32 s0, v126, 24
	v_max_i32_e32 v1, v4, v1
	v_xor_b32_e32 v0, s0, v0
	v_readlane_b32 s0, v126, 25
	buffer_store_dword v4, off, s[96:99], 0 offset:192 ; 4-byte Folded Spill
	s_nop 0
	buffer_store_dword v5, off, s[96:99], 0 offset:196 ; 4-byte Folded Spill
	v_pk_mov_b32 v[62:63], 0, 0
	s_waitcnt vmcnt(2)
	v_mul_hi_u32 v2, v1, v2
	v_mul_lo_u32 v3, v2, s0
	v_sub_u32_e32 v1, v1, v3
	v_add_u32_e32 v3, 1, v2
	v_cmp_le_u32_e32 vcc, s0, v1
	v_cndmask_b32_e32 v2, v2, v3, vcc
	v_subrev_u32_e32 v3, s0, v1
	v_cndmask_b32_e32 v1, v1, v3, vcc
	v_add_u32_e32 v3, 1, v2
	v_cmp_le_u32_e32 vcc, s0, v1
	v_cndmask_b32_e32 v1, v2, v3, vcc
	buffer_load_dword v3, off, s[96:99], 0 offset:204 ; 4-byte Folded Reload
	v_xor_b32_e32 v1, v1, v0
	v_sub_u32_e32 v0, v1, v0
	v_mul_lo_u32 v1, v0, s16
	v_sub_u32_e32 v2, 0, v0
	v_sub_u32_e32 v5, v4, v1
	v_ashrrev_i32_e32 v1, 31, v0
	v_readlane_b32 s0, v126, 26
	v_max_i32_e32 v2, v0, v2
	v_xor_b32_e32 v1, s0, v1
	v_readlane_b32 s0, v126, 27
	s_waitcnt vmcnt(0)
	v_mul_hi_u32 v3, v2, v3
	v_mul_lo_u32 v4, v3, s0
	v_sub_u32_e32 v2, v2, v4
	v_add_u32_e32 v4, 1, v3
	v_cmp_le_u32_e32 vcc, s0, v2
	v_cndmask_b32_e32 v3, v3, v4, vcc
	v_subrev_u32_e32 v4, s0, v2
	v_cndmask_b32_e32 v2, v2, v4, vcc
	v_add_u32_e32 v4, 1, v3
	v_cmp_le_u32_e32 vcc, s0, v2
	v_cndmask_b32_e32 v2, v3, v4, vcc
	buffer_load_dword v3, off, s[96:99], 0 offset:208 ; 4-byte Folded Reload
	v_xor_b32_e32 v2, v2, v1
	v_sub_u32_e32 v1, v2, v1
	v_mul_lo_u32 v2, v1, s15
	v_sub_u32_e32 v6, v0, v2
	v_sub_u32_e32 v2, 0, v1
	v_ashrrev_i32_e32 v0, 31, v1
	v_readlane_b32 s0, v126, 28
	v_max_i32_e32 v2, v1, v2
	v_xor_b32_e32 v0, s0, v0
	v_readlane_b32 s0, v126, 29
	s_waitcnt vmcnt(0)
	v_mul_hi_u32 v3, v2, v3
	v_mul_lo_u32 v4, v3, s0
	v_sub_u32_e32 v2, v2, v4
	v_add_u32_e32 v4, 1, v3
	v_cmp_le_u32_e32 vcc, s0, v2
	v_cndmask_b32_e32 v3, v3, v4, vcc
	v_subrev_u32_e32 v4, s0, v2
	v_cndmask_b32_e32 v2, v2, v4, vcc
	v_add_u32_e32 v4, 1, v3
	v_cmp_le_u32_e32 vcc, s0, v2
	v_cndmask_b32_e32 v2, v3, v4, vcc
	buffer_load_dword v3, off, s[96:99], 0 offset:212 ; 4-byte Folded Reload
	v_xor_b32_e32 v2, v2, v0
	v_sub_u32_e32 v0, v2, v0
	v_mul_lo_u32 v2, v0, s14
	v_sub_u32_e32 v7, v1, v2
	v_sub_u32_e32 v2, 0, v0
	v_ashrrev_i32_e32 v1, 31, v0
	v_readlane_b32 s0, v126, 9
	v_max_i32_e32 v2, v0, v2
	v_xor_b32_e32 v1, s0, v1
	v_readlane_b32 s0, v126, 0
	s_waitcnt vmcnt(0)
	v_mul_hi_u32 v3, v2, v3
	v_mul_lo_u32 v4, v3, s0
	v_sub_u32_e32 v2, v2, v4
	v_add_u32_e32 v4, 1, v3
	v_cmp_le_u32_e32 vcc, s0, v2
	v_cndmask_b32_e32 v3, v3, v4, vcc
	v_subrev_u32_e32 v4, s0, v2
	v_cndmask_b32_e32 v2, v2, v4, vcc
	v_add_u32_e32 v4, 1, v3
	v_cmp_le_u32_e32 vcc, s0, v2
	v_cndmask_b32_e32 v2, v3, v4, vcc
	v_xor_b32_e32 v2, v2, v1
	v_sub_u32_e32 v4, v2, v1
	v_mul_lo_u32 v1, v4, s13
	v_sub_u32_e32 v60, v0, v1
	v_mul_lo_u32 v0, v60, s33
	v_add_u32_e32 v1, s33, v0
	v_cmp_lt_i32_e32 vcc, v0, v1
	s_mov_b64 s[0:1], exec
	v_writelane_b32 v126, s0, 55
	v_writelane_b32 v126, s1, 56
	s_and_b64 s[0:1], s[0:1], vcc
	s_mov_b64 exec, s[0:1]
	s_cbranch_execz .LBB15_3
; %bb.5:                                ;   in Loop: Header=BB15_4 Depth=1
	buffer_load_dword v17, off, s[96:99], 0 offset:236 ; 4-byte Folded Reload
	buffer_load_dword v12, off, s[96:99], 0 offset:240 ; 4-byte Folded Reload
	;; [unrolled: 1-line block ×3, first 2 shown]
	v_readlane_b32 s0, v126, 10
	v_mul_lo_u32 v2, s0, v0
	v_readlane_b32 s44, v126, 34
	v_ashrrev_i32_e32 v3, 31, v2
	v_readlane_b32 s0, v126, 13
	v_readlane_b32 s49, v126, 39
	v_lshlrev_b64 v[2:3], 3, v[2:3]
	v_readlane_b32 s1, v126, 14
	buffer_store_dword v4, off, s[96:99], 0 offset:232 ; 4-byte Folded Spill
	v_mul_lo_u32 v4, s74, v4
	buffer_store_dword v5, off, s[96:99], 0 offset:216 ; 4-byte Folded Spill
	v_add_u32_e32 v1, s49, v5
	v_mov_b32_e32 v0, s1
	v_add_co_u32_e32 v2, vcc, s0, v2
	v_ashrrev_i32_e32 v5, 31, v4
	v_readlane_b32 s47, v126, 37
	v_addc_co_u32_e32 v3, vcc, v0, v3, vcc
	v_lshlrev_b64 v[4:5], 3, v[4:5]
	v_readlane_b32 s0, v126, 3
	v_add_u32_e32 v8, s47, v7
	v_add_co_u32_e32 v4, vcc, s0, v4
	v_readlane_b32 s1, v126, 4
	buffer_store_dword v4, off, s[96:99], 0 ; 4-byte Folded Spill
	v_sub_u32_e32 v4, 0, v8
	v_mov_b32_e32 v0, s1
	v_max_i32_e32 v4, v8, v4
	v_readlane_b32 s48, v126, 38
	v_addc_co_u32_e32 v0, vcc, v0, v5, vcc
	v_readlane_b32 s1, v126, 31
	buffer_store_dword v6, off, s[96:99], 0 offset:220 ; 4-byte Folded Spill
	v_add_u32_e32 v9, s48, v6
	buffer_store_dword v0, off, s[96:99], 0 offset:4 ; 4-byte Folded Spill
	v_ashrrev_i32_e32 v0, 31, v8
	v_readlane_b32 s20, v126, 30
	v_xor_b32_e32 v0, s20, v0
	v_readlane_b32 s4, v126, 33
	buffer_store_dword v7, off, s[96:99], 0 offset:224 ; 4-byte Folded Spill
	v_readlane_b32 s8, v126, 43
	v_readlane_b32 s0, v126, 22
	v_subrev_u32_e32 v13, s0, v9
	v_readlane_b32 s51, v126, 41
	v_readlane_b32 s5, v126, 32
	v_subrev_u32_e32 v15, s51, v9
	v_readlane_b32 s9, v126, 42
	v_readlane_b32 s0, v126, 23
	v_subrev_u32_e32 v16, s0, v8
	v_readlane_b32 s50, v126, 40
	v_subrev_u32_e32 v18, s50, v8
	v_readlane_b32 s72, v126, 5
	v_readlane_b32 s75, v126, 8
	;; [unrolled: 1-line block ×6, first 2 shown]
                                        ; implicit-def: $vgpr127 : SGPR spill to VGPR lane
	buffer_store_dword v60, off, s[96:99], 0 offset:228 ; 4-byte Folded Spill
	s_mov_b32 s72, s33
	s_waitcnt vmcnt(9)
	v_mul_hi_u32 v5, v4, v17
	v_mul_lo_u32 v6, v5, s1
	v_sub_u32_e32 v4, v4, v6
	v_add_u32_e32 v6, 1, v5
	v_cmp_le_u32_e32 vcc, s1, v4
	v_cndmask_b32_e32 v5, v5, v6, vcc
	v_subrev_u32_e32 v6, s1, v4
	v_cndmask_b32_e32 v4, v4, v6, vcc
	v_add_u32_e32 v6, 1, v5
	v_cmp_le_u32_e32 vcc, s1, v4
	v_cndmask_b32_e32 v4, v5, v6, vcc
	v_xor_b32_e32 v4, v4, v0
	v_sub_u32_e32 v5, v4, v0
	v_sub_u32_e32 v4, 0, v9
	v_max_i32_e32 v4, v9, v4
	s_waitcnt vmcnt(8)
	v_mul_hi_u32 v6, v4, v12
	v_mul_lo_u32 v7, v6, s4
	v_sub_u32_e32 v4, v4, v7
	v_add_u32_e32 v7, 1, v6
	v_cmp_le_u32_e32 vcc, s4, v4
	v_cndmask_b32_e32 v6, v6, v7, vcc
	v_subrev_u32_e32 v7, s4, v4
	v_cndmask_b32_e32 v4, v4, v7, vcc
	v_add_u32_e32 v7, 1, v6
	v_cmp_le_u32_e32 vcc, s4, v4
	v_cndmask_b32_e32 v4, v6, v7, vcc
	v_sub_u32_e32 v6, 0, v1
	v_max_i32_e32 v6, v1, v6
	s_waitcnt vmcnt(7)
	v_mul_hi_u32 v7, v6, v29
	v_mul_lo_u32 v10, v7, s8
	v_sub_u32_e32 v6, v6, v10
	v_add_u32_e32 v10, 1, v7
	v_cmp_le_u32_e32 vcc, s8, v6
	v_cndmask_b32_e32 v7, v7, v10, vcc
	v_subrev_u32_e32 v10, s8, v6
	v_cndmask_b32_e32 v6, v6, v10, vcc
	v_add_u32_e32 v10, 1, v7
	v_cmp_le_u32_e32 vcc, s8, v6
	v_cndmask_b32_e32 v6, v7, v10, vcc
	v_sub_u32_e32 v7, 0, v13
	v_max_i32_e32 v7, v13, v7
	v_mul_hi_u32 v10, v7, v12
	v_mul_lo_u32 v11, v10, s4
	v_sub_u32_e32 v7, v7, v11
	v_add_u32_e32 v11, 1, v10
	v_cmp_le_u32_e32 vcc, s4, v7
	v_cndmask_b32_e32 v10, v10, v11, vcc
	v_subrev_u32_e32 v11, s4, v7
	v_cndmask_b32_e32 v7, v7, v11, vcc
	v_ashrrev_i32_e32 v0, 31, v9
	v_add_u32_e32 v11, 1, v10
	v_cmp_le_u32_e32 vcc, s4, v7
	v_xor_b32_e32 v0, s5, v0
	v_cndmask_b32_e32 v7, v10, v11, vcc
	v_sub_u32_e32 v10, 0, v15
	v_xor_b32_e32 v4, v4, v0
	v_max_i32_e32 v10, v15, v10
	v_sub_u32_e32 v0, v4, v0
	v_ashrrev_i32_e32 v4, 31, v1
	v_mul_hi_u32 v11, v10, v12
	v_xor_b32_e32 v4, s9, v4
	v_mul_lo_u32 v12, v11, s4
	v_xor_b32_e32 v6, v6, v4
	v_sub_u32_e32 v10, v10, v12
	v_sub_u32_e32 v4, v6, v4
	v_ashrrev_i32_e32 v6, 31, v13
	v_add_u32_e32 v12, 1, v11
	v_cmp_le_u32_e32 vcc, s4, v10
	v_xor_b32_e32 v6, s5, v6
	v_cndmask_b32_e32 v11, v11, v12, vcc
	v_subrev_u32_e32 v12, s4, v10
	v_xor_b32_e32 v7, v7, v6
	v_cndmask_b32_e32 v10, v10, v12, vcc
	v_sub_u32_e32 v6, v7, v6
	v_ashrrev_i32_e32 v7, 31, v15
	v_add_u32_e32 v12, 1, v11
	v_cmp_le_u32_e32 vcc, s4, v10
	v_xor_b32_e32 v7, s5, v7
	v_cndmask_b32_e32 v10, v11, v12, vcc
	v_xor_b32_e32 v10, v10, v7
	v_sub_u32_e32 v7, v10, v7
	v_sub_u32_e32 v10, 0, v16
	v_max_i32_e32 v10, v16, v10
	v_mul_hi_u32 v11, v10, v17
	v_mul_lo_u32 v12, v11, s1
	v_sub_u32_e32 v10, v10, v12
	v_add_u32_e32 v12, 1, v11
	v_cmp_le_u32_e32 vcc, s1, v10
	v_cndmask_b32_e32 v11, v11, v12, vcc
	v_subrev_u32_e32 v12, s1, v10
	v_cndmask_b32_e32 v10, v10, v12, vcc
	v_add_u32_e32 v12, 1, v11
	v_cmp_le_u32_e32 vcc, s1, v10
	v_cndmask_b32_e32 v24, v11, v12, vcc
	v_sub_u32_e32 v11, 0, v18
	v_max_i32_e32 v11, v18, v11
	v_mul_hi_u32 v12, v11, v17
	v_mul_lo_u32 v17, v12, s1
	v_sub_u32_e32 v11, v11, v17
	v_add_u32_e32 v17, 1, v12
	v_cmp_le_u32_e32 vcc, s1, v11
	v_cndmask_b32_e32 v12, v12, v17, vcc
	v_subrev_u32_e32 v17, s1, v11
	v_cndmask_b32_e32 v11, v11, v17, vcc
	v_ashrrev_i32_e32 v10, 31, v18
	v_add_u32_e32 v17, 1, v12
	v_cmp_le_u32_e32 vcc, s1, v11
	v_xor_b32_e32 v10, s20, v10
	v_cndmask_b32_e32 v11, v12, v17, vcc
	v_or_b32_e32 v22, v4, v0
	v_xor_b32_e32 v11, v11, v10
	v_sub_u32_e32 v11, v11, v10
	v_or_b32_e32 v10, v22, v5
	v_cmp_lt_i32_e64 s[0:1], -1, v10
	v_cmp_gt_i32_e32 vcc, s75, v4
	v_cmp_gt_i32_e64 s[2:3], s74, v0
	s_and_b64 s[0:1], vcc, s[0:1]
	v_cmp_gt_i32_e64 s[6:7], s73, v5
	s_and_b64 s[0:1], s[0:1], s[2:3]
	s_and_b64 s[0:1], s[0:1], s[6:7]
	v_writelane_b32 v126, s0, 57
	v_writelane_b32 v126, s1, 58
	v_readlane_b32 s0, v126, 20
	v_subrev_u32_e32 v17, s0, v1
	v_sub_u32_e32 v12, 0, v17
	v_max_i32_e32 v12, v17, v12
	v_mul_hi_u32 v19, v12, v29
	v_mul_lo_u32 v21, v19, s8
	v_sub_u32_e32 v12, v12, v21
	v_add_u32_e32 v21, 1, v19
	v_cmp_le_u32_e64 s[0:1], s8, v12
	v_cndmask_b32_e64 v19, v19, v21, s[0:1]
	v_subrev_u32_e32 v21, s8, v12
	v_cndmask_b32_e64 v12, v12, v21, s[0:1]
	v_ashrrev_i32_e32 v10, 31, v17
	v_add_u32_e32 v21, 1, v19
	v_cmp_le_u32_e64 s[0:1], s8, v12
	v_xor_b32_e32 v10, s9, v10
	v_cndmask_b32_e64 v12, v19, v21, s[0:1]
	v_xor_b32_e32 v12, v12, v10
	v_sub_u32_e32 v10, v12, v10
	v_or_b32_e32 v26, v10, v0
	v_or_b32_e32 v12, v26, v5
	v_cmp_lt_i32_e64 s[4:5], -1, v12
	v_cmp_gt_i32_e64 s[0:1], s75, v10
	s_and_b64 s[4:5], s[0:1], s[4:5]
	s_and_b64 s[4:5], s[4:5], s[2:3]
	;; [unrolled: 1-line block ×3, first 2 shown]
	v_writelane_b32 v126, s4, 59
	v_writelane_b32 v126, s5, 60
	v_readlane_b32 s4, v126, 21
	v_subrev_u32_e32 v19, s4, v1
	v_sub_u32_e32 v23, 0, v19
	v_max_i32_e32 v23, v19, v23
	v_mul_hi_u32 v29, v23, v29
	v_mul_lo_u32 v30, v29, s8
	v_sub_u32_e32 v23, v23, v30
	v_add_u32_e32 v30, 1, v29
	v_cmp_le_u32_e64 s[4:5], s8, v23
	v_cndmask_b32_e64 v29, v29, v30, s[4:5]
	v_subrev_u32_e32 v30, s8, v23
	v_cndmask_b32_e64 v23, v23, v30, s[4:5]
	v_ashrrev_i32_e32 v12, 31, v19
	v_add_u32_e32 v30, 1, v29
	v_cmp_le_u32_e64 s[4:5], s8, v23
	v_xor_b32_e32 v12, s9, v12
	v_cndmask_b32_e64 v23, v29, v30, s[4:5]
	v_xor_b32_e32 v23, v23, v12
	v_sub_u32_e32 v12, v23, v12
	v_or_b32_e32 v30, v12, v0
	v_or_b32_e32 v32, v30, v5
	v_cmp_lt_i32_e64 s[8:9], -1, v32
	v_cmp_gt_i32_e64 s[4:5], s75, v12
	s_and_b64 s[8:9], s[4:5], s[8:9]
	s_and_b64 s[8:9], s[8:9], s[2:3]
	v_or_b32_e32 v20, v4, v7
	s_and_b64 s[8:9], s[8:9], s[6:7]
	v_writelane_b32 v126, s8, 61
	v_or_b32_e32 v33, v20, v5
	v_writelane_b32 v126, s9, 62
	v_cmp_lt_i32_e64 s[8:9], -1, v33
	v_cmp_gt_i32_e64 s[10:11], s74, v7
	s_and_b64 s[8:9], vcc, s[8:9]
	s_and_b64 s[8:9], s[8:9], s[10:11]
	v_or_b32_e32 v25, v10, v7
	s_and_b64 s[8:9], s[8:9], s[6:7]
	v_writelane_b32 v126, s8, 63
	v_or_b32_e32 v34, v25, v5
	v_writelane_b32 v127, s9, 0
	v_cmp_lt_i32_e64 s[8:9], -1, v34
	s_and_b64 s[8:9], s[0:1], s[8:9]
	s_and_b64 s[8:9], s[8:9], s[10:11]
	v_or_b32_e32 v29, v12, v7
	s_and_b64 s[8:9], s[8:9], s[6:7]
	v_writelane_b32 v127, s8, 1
	v_or_b32_e32 v35, v29, v5
	v_writelane_b32 v127, s9, 2
	v_cmp_lt_i32_e64 s[8:9], -1, v35
	s_and_b64 s[8:9], s[4:5], s[8:9]
	v_or_b32_e32 v14, v4, v6
	s_and_b64 s[8:9], s[8:9], s[10:11]
	s_and_b64 s[8:9], s[8:9], s[6:7]
	v_or_b32_e32 v36, v14, v5
	v_writelane_b32 v127, s8, 3
	v_cmp_lt_i32_e64 s[12:13], -1, v36
	v_writelane_b32 v127, s9, 4
	v_cmp_gt_i32_e64 s[8:9], s74, v6
	s_and_b64 s[12:13], vcc, s[12:13]
	s_and_b64 s[12:13], s[12:13], s[8:9]
	v_or_b32_e32 v21, v10, v6
	s_and_b64 s[12:13], s[12:13], s[6:7]
	v_writelane_b32 v127, s12, 5
	v_or_b32_e32 v37, v21, v5
	v_writelane_b32 v127, s13, 6
	v_cmp_lt_i32_e64 s[12:13], -1, v37
	s_and_b64 s[12:13], s[0:1], s[12:13]
	s_and_b64 s[12:13], s[12:13], s[8:9]
	v_or_b32_e32 v23, v12, v6
	s_and_b64 s[12:13], s[12:13], s[6:7]
	v_writelane_b32 v127, s12, 7
	v_or_b32_e32 v38, v23, v5
	v_writelane_b32 v127, s13, 8
	v_cmp_lt_i32_e64 s[12:13], -1, v38
	s_and_b64 s[12:13], s[4:5], s[12:13]
	s_and_b64 s[12:13], s[12:13], s[8:9]
	v_or_b32_e32 v27, v22, v11
	s_and_b64 s[6:7], s[12:13], s[6:7]
	v_writelane_b32 v127, s6, 9
	v_cmp_lt_i32_e64 s[12:13], -1, v27
	s_and_b64 s[14:15], vcc, s[2:3]
	v_or_b32_e32 v28, v26, v11
	v_writelane_b32 v127, s7, 10
	v_cmp_gt_i32_e64 s[6:7], s73, v11
	s_and_b64 s[12:13], s[14:15], s[12:13]
	s_and_b64 s[66:67], s[12:13], s[6:7]
	v_cmp_lt_i32_e64 s[12:13], -1, v28
	s_and_b64 s[16:17], s[0:1], s[2:3]
	s_and_b64 s[12:13], s[16:17], s[12:13]
	;; [unrolled: 1-line block ×3, first 2 shown]
	v_or_b32_e32 v31, v30, v11
	v_writelane_b32 v127, s12, 11
	v_writelane_b32 v127, s13, 12
	v_cmp_lt_i32_e64 s[12:13], -1, v31
	s_and_b64 s[18:19], s[4:5], s[2:3]
	v_or_b32_e32 v32, v20, v11
	s_and_b64 s[2:3], s[18:19], s[12:13]
	s_and_b64 s[90:91], s[2:3], s[6:7]
	v_cmp_lt_i32_e64 s[2:3], -1, v32
	s_and_b64 s[2:3], vcc, s[2:3]
	v_or_b32_e32 v33, v25, v11
	s_and_b64 s[2:3], s[2:3], s[10:11]
	s_and_b64 s[56:57], s[2:3], s[6:7]
	v_cmp_lt_i32_e64 s[2:3], -1, v33
	s_and_b64 s[2:3], s[0:1], s[2:3]
	v_or_b32_e32 v34, v29, v11
	s_and_b64 s[2:3], s[2:3], s[10:11]
	s_and_b64 s[58:59], s[2:3], s[6:7]
	v_cmp_lt_i32_e64 s[2:3], -1, v34
	s_and_b64 s[2:3], s[4:5], s[2:3]
	v_or_b32_e32 v35, v14, v11
	s_and_b64 s[2:3], s[2:3], s[10:11]
	s_and_b64 s[60:61], s[2:3], s[6:7]
	v_cmp_lt_i32_e64 s[2:3], -1, v35
	s_and_b64 s[2:3], vcc, s[2:3]
	v_or_b32_e32 v36, v21, v11
	s_and_b64 s[2:3], s[2:3], s[8:9]
	s_and_b64 s[62:63], s[2:3], s[6:7]
	v_cmp_lt_i32_e64 s[2:3], -1, v36
	s_and_b64 s[2:3], s[0:1], s[2:3]
	v_ashrrev_i32_e32 v27, 31, v16
	v_or_b32_e32 v37, v23, v11
	s_and_b64 s[2:3], s[2:3], s[8:9]
	v_xor_b32_e32 v27, s20, v27
	s_and_b64 s[68:69], s[2:3], s[6:7]
	v_cmp_lt_i32_e64 s[2:3], -1, v37
	v_xor_b32_e32 v24, v24, v27
	s_and_b64 s[2:3], s[4:5], s[2:3]
	v_sub_u32_e32 v48, v24, v27
	s_and_b64 s[2:3], s[2:3], s[8:9]
	v_or_b32_e32 v22, v22, v48
	s_and_b64 s[70:71], s[2:3], s[6:7]
	v_cmp_lt_i32_e64 s[2:3], -1, v22
	v_or_b32_e32 v22, v26, v48
	s_and_b64 s[14:15], s[14:15], s[2:3]
	v_cmp_lt_i32_e64 s[2:3], -1, v22
	;; [unrolled: 3-line block ×4, first 2 shown]
	v_or_b32_e32 v22, v25, v48
	s_and_b64 s[2:3], vcc, s[2:3]
	s_and_b64 s[20:21], s[2:3], s[10:11]
	v_cmp_lt_i32_e64 s[2:3], -1, v22
	v_or_b32_e32 v24, v29, v48
	s_and_b64 s[2:3], s[0:1], s[2:3]
	s_and_b64 s[22:23], s[2:3], s[10:11]
	v_cmp_lt_i32_e64 s[2:3], -1, v24
	s_and_b64 s[2:3], s[4:5], s[2:3]
	v_mul_lo_u32 v20, v5, s44
	v_mul_lo_u32 v22, v0, s45
	;; [unrolled: 1-line block ×4, first 2 shown]
	s_and_b64 s[24:25], s[2:3], s[10:11]
	v_cmp_eq_u32_e64 s[2:3], v20, v8
	v_cmp_eq_u32_e64 s[6:7], v22, v9
	;; [unrolled: 1-line block ×4, first 2 shown]
	v_mul_lo_u32 v8, v11, s44
	s_and_b64 s[26:27], s[2:3], s[6:7]
	s_and_b64 s[28:29], s[2:3], s[10:11]
	;; [unrolled: 1-line block ×3, first 2 shown]
	v_cmp_eq_u32_e64 s[2:3], v8, v18
	v_mul_lo_u32 v8, v48, s44
	s_and_b64 s[34:35], s[2:3], s[6:7]
	s_and_b64 s[36:37], s[2:3], s[10:11]
	;; [unrolled: 1-line block ×3, first 2 shown]
	v_cmp_eq_u32_e64 s[2:3], v8, v16
	v_or_b32_e32 v8, v14, v48
	s_and_b64 s[42:43], s[2:3], s[6:7]
	s_and_b64 s[48:49], s[2:3], s[10:11]
	;; [unrolled: 1-line block ×3, first 2 shown]
	v_cmp_lt_i32_e64 s[2:3], -1, v8
	v_or_b32_e32 v8, v21, v48
	s_and_b64 s[2:3], vcc, s[2:3]
	v_cmp_lt_i32_e32 vcc, -1, v8
	v_or_b32_e32 v8, v23, v48
	s_and_b64 s[0:1], s[0:1], vcc
	v_cmp_lt_i32_e32 vcc, -1, v8
	s_and_b64 s[4:5], s[4:5], vcc
	s_and_b64 s[2:3], s[2:3], s[8:9]
	s_and_b64 s[0:1], s[0:1], s[8:9]
	;; [unrolled: 1-line block ×3, first 2 shown]
	v_cmp_gt_i32_e32 vcc, s73, v48
	v_mul_lo_u32 v8, v4, s46
	s_and_b64 s[88:89], s[14:15], vcc
	s_and_b64 s[82:83], s[16:17], vcc
	;; [unrolled: 1-line block ×9, first 2 shown]
	v_cmp_eq_u32_e32 vcc, v8, v1
	v_mul_lo_u32 v1, v5, s74
	v_add_u32_e32 v5, v0, v1
	v_mul_lo_u32 v5, v5, s75
	v_mul_lo_u32 v9, v10, s46
	v_add_u32_e32 v8, v4, v5
	v_cmp_eq_u32_e64 s[52:53], v9, v17
	v_ashrrev_i32_e32 v9, 31, v8
	v_add_u32_e32 v14, v10, v5
	v_lshlrev_b64 v[8:9], 3, v[8:9]
	v_ashrrev_i32_e32 v15, 31, v14
	buffer_store_dword v8, off, s[96:99], 0 offset:8 ; 4-byte Folded Spill
	s_nop 0
	buffer_store_dword v9, off, s[96:99], 0 offset:12 ; 4-byte Folded Spill
	v_add_u32_e32 v16, v12, v5
	v_add_u32_e32 v5, v7, v1
	v_lshlrev_b64 v[8:9], 3, v[14:15]
	v_ashrrev_i32_e32 v17, 31, v16
	v_mul_lo_u32 v5, v5, s75
	buffer_store_dword v8, off, s[96:99], 0 offset:16 ; 4-byte Folded Spill
	s_nop 0
	buffer_store_dword v9, off, s[96:99], 0 offset:20 ; 4-byte Folded Spill
	v_mul_lo_u32 v13, v12, s46
	v_add_u32_e32 v18, v4, v5
	v_lshlrev_b64 v[8:9], 3, v[16:17]
	v_cmp_eq_u32_e64 s[54:55], v13, v19
	v_ashrrev_i32_e32 v19, 31, v18
	buffer_store_dword v8, off, s[96:99], 0 offset:24 ; 4-byte Folded Spill
	s_nop 0
	buffer_store_dword v9, off, s[96:99], 0 offset:28 ; 4-byte Folded Spill
	v_add_u32_e32 v20, v10, v5
	v_lshlrev_b64 v[8:9], 3, v[18:19]
	v_ashrrev_i32_e32 v21, 31, v20
	buffer_store_dword v8, off, s[96:99], 0 offset:32 ; 4-byte Folded Spill
	s_nop 0
	buffer_store_dword v9, off, s[96:99], 0 offset:36 ; 4-byte Folded Spill
	v_add_u32_e32 v22, v12, v5
	v_add_u32_e32 v1, v6, v1
	v_lshlrev_b64 v[8:9], 3, v[20:21]
	v_ashrrev_i32_e32 v23, 31, v22
	v_mul_lo_u32 v1, v1, s75
	buffer_store_dword v8, off, s[96:99], 0 offset:40 ; 4-byte Folded Spill
	s_nop 0
	buffer_store_dword v9, off, s[96:99], 0 offset:44 ; 4-byte Folded Spill
	v_add_u32_e32 v24, v4, v1
	v_lshlrev_b64 v[8:9], 3, v[22:23]
	v_ashrrev_i32_e32 v25, 31, v24
	buffer_store_dword v8, off, s[96:99], 0 offset:48 ; 4-byte Folded Spill
	s_nop 0
	buffer_store_dword v9, off, s[96:99], 0 offset:52 ; 4-byte Folded Spill
	v_add_u32_e32 v26, v10, v1
	v_lshlrev_b64 v[8:9], 3, v[24:25]
	v_ashrrev_i32_e32 v27, 31, v26
	v_add_u32_e32 v28, v12, v1
	v_mul_lo_u32 v1, v11, s74
	buffer_store_dword v8, off, s[96:99], 0 offset:56 ; 4-byte Folded Spill
	s_nop 0
	buffer_store_dword v9, off, s[96:99], 0 offset:60 ; 4-byte Folded Spill
	v_add_u32_e32 v5, v0, v1
	v_lshlrev_b64 v[8:9], 3, v[26:27]
	v_ashrrev_i32_e32 v29, 31, v28
	v_mul_lo_u32 v5, v5, s75
	buffer_store_dword v8, off, s[96:99], 0 offset:64 ; 4-byte Folded Spill
	s_nop 0
	buffer_store_dword v9, off, s[96:99], 0 offset:68 ; 4-byte Folded Spill
	v_add_u32_e32 v30, v4, v5
	v_lshlrev_b64 v[8:9], 3, v[28:29]
	v_ashrrev_i32_e32 v31, 31, v30
	buffer_store_dword v8, off, s[96:99], 0 offset:72 ; 4-byte Folded Spill
	s_nop 0
	buffer_store_dword v9, off, s[96:99], 0 offset:76 ; 4-byte Folded Spill
	v_add_u32_e32 v32, v10, v5
	v_lshlrev_b64 v[8:9], 3, v[30:31]
	v_ashrrev_i32_e32 v33, 31, v32
	buffer_store_dword v8, off, s[96:99], 0 offset:80 ; 4-byte Folded Spill
	s_nop 0
	buffer_store_dword v9, off, s[96:99], 0 offset:84 ; 4-byte Folded Spill
	v_add_u32_e32 v34, v12, v5
	v_add_u32_e32 v5, v7, v1
	v_lshlrev_b64 v[8:9], 3, v[32:33]
	v_ashrrev_i32_e32 v35, 31, v34
	v_mul_lo_u32 v5, v5, s75
	buffer_store_dword v8, off, s[96:99], 0 offset:88 ; 4-byte Folded Spill
	s_nop 0
	buffer_store_dword v9, off, s[96:99], 0 offset:92 ; 4-byte Folded Spill
	v_add_u32_e32 v36, v4, v5
	v_lshlrev_b64 v[8:9], 3, v[34:35]
	v_ashrrev_i32_e32 v37, 31, v36
	buffer_store_dword v8, off, s[96:99], 0 offset:96 ; 4-byte Folded Spill
	s_nop 0
	buffer_store_dword v9, off, s[96:99], 0 offset:100 ; 4-byte Folded Spill
	v_add_u32_e32 v38, v10, v5
	v_lshlrev_b64 v[8:9], 3, v[36:37]
	v_ashrrev_i32_e32 v39, 31, v38
	buffer_store_dword v8, off, s[96:99], 0 offset:104 ; 4-byte Folded Spill
	s_nop 0
	buffer_store_dword v9, off, s[96:99], 0 offset:108 ; 4-byte Folded Spill
	v_add_u32_e32 v40, v12, v5
	v_add_u32_e32 v1, v6, v1
	v_lshlrev_b64 v[8:9], 3, v[38:39]
	v_ashrrev_i32_e32 v41, 31, v40
	v_mul_lo_u32 v1, v1, s75
	buffer_store_dword v8, off, s[96:99], 0 offset:112 ; 4-byte Folded Spill
	s_nop 0
	buffer_store_dword v9, off, s[96:99], 0 offset:116 ; 4-byte Folded Spill
	v_add_u32_e32 v42, v4, v1
	v_lshlrev_b64 v[8:9], 3, v[40:41]
	v_ashrrev_i32_e32 v43, 31, v42
	v_mul_lo_u32 v5, v48, s74
	buffer_store_dword v8, off, s[96:99], 0 offset:120 ; 4-byte Folded Spill
	s_nop 0
	buffer_store_dword v9, off, s[96:99], 0 offset:124 ; 4-byte Folded Spill
	v_add_u32_e32 v44, v10, v1
	v_add_u32_e32 v0, v0, v5
	v_lshlrev_b64 v[8:9], 3, v[42:43]
	v_ashrrev_i32_e32 v45, 31, v44
	v_mul_lo_u32 v11, v0, s75
	buffer_store_dword v8, off, s[96:99], 0 offset:128 ; 4-byte Folded Spill
	s_nop 0
	buffer_store_dword v9, off, s[96:99], 0 offset:132 ; 4-byte Folded Spill
	v_add_u32_e32 v46, v12, v1
	v_add_u32_e32 v0, v4, v11
	v_lshlrev_b64 v[8:9], 3, v[44:45]
	v_ashrrev_i32_e32 v47, 31, v46
	v_ashrrev_i32_e32 v1, 31, v0
	buffer_store_dword v8, off, s[96:99], 0 offset:136 ; 4-byte Folded Spill
	s_nop 0
	buffer_store_dword v9, off, s[96:99], 0 offset:140 ; 4-byte Folded Spill
	v_add_u32_e32 v48, v10, v11
	v_lshlrev_b64 v[8:9], 3, v[46:47]
	v_lshlrev_b64 v[0:1], 3, v[0:1]
	v_ashrrev_i32_e32 v49, 31, v48
	buffer_store_dword v8, off, s[96:99], 0 offset:144 ; 4-byte Folded Spill
	s_nop 0
	buffer_store_dword v9, off, s[96:99], 0 offset:148 ; 4-byte Folded Spill
	buffer_store_dword v0, off, s[96:99], 0 offset:152 ; 4-byte Folded Spill
	s_nop 0
	buffer_store_dword v1, off, s[96:99], 0 offset:156 ; 4-byte Folded Spill
	v_add_u32_e32 v50, v12, v11
	v_add_u32_e32 v7, v7, v5
	v_lshlrev_b64 v[0:1], 3, v[48:49]
	v_ashrrev_i32_e32 v51, 31, v50
	v_mul_lo_u32 v7, v7, s75
	buffer_store_dword v0, off, s[96:99], 0 offset:160 ; 4-byte Folded Spill
	s_nop 0
	buffer_store_dword v1, off, s[96:99], 0 offset:164 ; 4-byte Folded Spill
	v_add_u32_e32 v52, v4, v7
	v_add_u32_e32 v5, v6, v5
	v_lshlrev_b64 v[0:1], 3, v[50:51]
	v_ashrrev_i32_e32 v53, 31, v52
	v_mul_lo_u32 v5, v5, s75
	buffer_store_dword v0, off, s[96:99], 0 offset:168 ; 4-byte Folded Spill
	s_nop 0
	buffer_store_dword v1, off, s[96:99], 0 offset:172 ; 4-byte Folded Spill
	v_add_u32_e32 v54, v10, v7
	v_add_u32_e32 v56, v12, v7
	;; [unrolled: 1-line block ×5, first 2 shown]
	v_lshlrev_b64 v[0:1], 3, v[52:53]
	s_and_b64 s[0:1], s[26:27], vcc
	s_and_b64 s[2:3], s[26:27], s[52:53]
	s_and_b64 s[4:5], s[26:27], s[54:55]
	s_and_b64 s[6:7], s[28:29], vcc
	s_and_b64 s[8:9], s[28:29], s[52:53]
	s_and_b64 s[10:11], s[28:29], s[54:55]
	;; [unrolled: 3-line block ×9, first 2 shown]
	v_ashrrev_i32_e32 v55, 31, v54
	v_ashrrev_i32_e32 v57, 31, v56
	v_readlane_b32 s74, v126, 51
	v_ashrrev_i32_e32 v59, 31, v58
	v_ashrrev_i32_e32 v11, 31, v10
	;; [unrolled: 1-line block ×3, first 2 shown]
	v_readlane_b32 s64, v126, 44
	v_pk_mov_b32 v[6:7], 0, 0
	buffer_store_dword v0, off, s[96:99], 0 offset:176 ; 4-byte Folded Spill
	s_nop 0
	buffer_store_dword v1, off, s[96:99], 0 offset:180 ; 4-byte Folded Spill
	v_readlane_b32 s75, v126, 52
	v_mul_lo_u32 v4, s64, v60
	v_lshlrev_b64 v[0:1], 3, v[54:55]
	v_lshlrev_b64 v[54:55], 3, v[56:57]
	;; [unrolled: 1-line block ×5, first 2 shown]
	v_pk_mov_b32 v[62:63], v[6:7], v[6:7] op_sel:[0,1]
	buffer_store_dword v0, off, s[96:99], 0 offset:184 ; 4-byte Folded Spill
	s_nop 0
	buffer_store_dword v1, off, s[96:99], 0 offset:188 ; 4-byte Folded Spill
	s_branch .LBB15_7
.LBB15_6:                               ;   in Loop: Header=BB15_7 Depth=2
	s_or_b64 exec, exec, s[64:65]
	s_waitcnt vmcnt(26)
	v_fma_f64 v[52:53], v[64:65], v[66:67], v[62:63]
	v_cndmask_b32_e64 v53, v63, v53, s[0:1]
	v_cndmask_b32_e64 v52, v62, v52, s[0:1]
	v_pk_mov_b32 v[62:63], v[52:53], v[52:53] op_sel:[0,1]
	s_waitcnt vmcnt(25)
	v_fmac_f64_e32 v[62:63], v[68:69], v[72:73]
	v_cndmask_b32_e64 v53, v53, v63, s[2:3]
	v_cndmask_b32_e64 v52, v52, v62, s[2:3]
	v_pk_mov_b32 v[62:63], v[52:53], v[52:53] op_sel:[0,1]
	s_waitcnt vmcnt(24)
	v_fmac_f64_e32 v[62:63], v[74:75], v[70:71]
	;; [unrolled: 5-line block ×26, first 2 shown]
	v_add_co_u32_e32 v2, vcc, 0xd8, v2
	s_add_i32 s33, s33, -1
	v_cndmask_b32_e64 v63, v1, v9, s[54:55]
	v_cndmask_b32_e64 v62, v0, v8, s[54:55]
	v_addc_co_u32_e32 v3, vcc, 0, v3, vcc
	s_cmp_eq_u32 s33, 0
	v_add_u32_e32 v4, s75, v4
	s_cbranch_scc1 .LBB15_2
.LBB15_7:                               ;   Parent Loop BB15_4 Depth=1
                                        ; =>  This Inner Loop Header: Depth=2
	v_ashrrev_i32_e32 v5, 31, v4
	v_lshlrev_b64 v[0:1], 3, v[4:5]
	buffer_load_dword v5, off, s[96:99], 0  ; 4-byte Folded Reload
	global_load_dwordx2 v[64:65], v[2:3], off
	v_pk_mov_b32 v[66:67], v[6:7], v[6:7] op_sel:[0,1]
	s_waitcnt vmcnt(1)
	v_add_co_u32_e32 v5, vcc, v5, v0
	buffer_load_dword v0, off, s[96:99], 0 offset:4 ; 4-byte Folded Reload
	s_waitcnt vmcnt(0)
	v_addc_co_u32_e32 v52, vcc, v0, v1, vcc
	s_mov_b64 s[64:65], exec
	v_readlane_b32 vcc_lo, v126, 57
	v_readlane_b32 vcc_hi, v126, 58
	s_and_b64 vcc, s[64:65], vcc
	s_mov_b64 exec, vcc
	s_cbranch_execz .LBB15_9
; %bb.8:                                ;   in Loop: Header=BB15_7 Depth=2
	buffer_load_dword v0, off, s[96:99], 0 offset:8 ; 4-byte Folded Reload
	buffer_load_dword v1, off, s[96:99], 0 offset:12 ; 4-byte Folded Reload
	s_waitcnt vmcnt(1)
	v_add_co_u32_e32 v0, vcc, v5, v0
	s_waitcnt vmcnt(0)
	v_addc_co_u32_e32 v1, vcc, v52, v1, vcc
	global_load_dwordx2 v[66:67], v[0:1], off
.LBB15_9:                               ;   in Loop: Header=BB15_7 Depth=2
	s_or_b64 exec, exec, s[64:65]
	global_load_dwordx2 v[68:69], v[2:3], off offset:8
	v_pk_mov_b32 v[70:71], 0, 0
	v_pk_mov_b32 v[72:73], v[70:71], v[70:71] op_sel:[0,1]
	s_mov_b64 s[64:65], exec
	v_readlane_b32 vcc_lo, v126, 59
	v_readlane_b32 vcc_hi, v126, 60
	s_and_b64 vcc, s[64:65], vcc
	s_mov_b64 exec, vcc
	s_cbranch_execz .LBB15_11
; %bb.10:                               ;   in Loop: Header=BB15_7 Depth=2
	buffer_load_dword v0, off, s[96:99], 0 offset:16 ; 4-byte Folded Reload
	buffer_load_dword v1, off, s[96:99], 0 offset:20 ; 4-byte Folded Reload
	s_waitcnt vmcnt(1)
	v_add_co_u32_e32 v0, vcc, v5, v0
	s_waitcnt vmcnt(0)
	v_addc_co_u32_e32 v1, vcc, v52, v1, vcc
	global_load_dwordx2 v[72:73], v[0:1], off
.LBB15_11:                              ;   in Loop: Header=BB15_7 Depth=2
	s_or_b64 exec, exec, s[64:65]
	global_load_dwordx2 v[74:75], v[2:3], off offset:16
	s_mov_b64 s[64:65], exec
	v_readlane_b32 vcc_lo, v126, 61
	v_readlane_b32 vcc_hi, v126, 62
	s_and_b64 vcc, s[64:65], vcc
	s_mov_b64 exec, vcc
	s_cbranch_execz .LBB15_13
; %bb.12:                               ;   in Loop: Header=BB15_7 Depth=2
	buffer_load_dword v0, off, s[96:99], 0 offset:24 ; 4-byte Folded Reload
	buffer_load_dword v1, off, s[96:99], 0 offset:28 ; 4-byte Folded Reload
	s_waitcnt vmcnt(1)
	v_add_co_u32_e32 v0, vcc, v5, v0
	s_waitcnt vmcnt(0)
	v_addc_co_u32_e32 v1, vcc, v52, v1, vcc
	global_load_dwordx2 v[70:71], v[0:1], off
.LBB15_13:                              ;   in Loop: Header=BB15_7 Depth=2
	s_or_b64 exec, exec, s[64:65]
	global_load_dwordx2 v[76:77], v[2:3], off offset:24
	v_pk_mov_b32 v[78:79], 0, 0
	v_pk_mov_b32 v[80:81], v[78:79], v[78:79] op_sel:[0,1]
	s_mov_b64 s[64:65], exec
	v_readlane_b32 vcc_lo, v126, 63
	v_readlane_b32 vcc_hi, v127, 0
	s_and_b64 vcc, s[64:65], vcc
	s_mov_b64 exec, vcc
	s_cbranch_execz .LBB15_15
; %bb.14:                               ;   in Loop: Header=BB15_7 Depth=2
	buffer_load_dword v0, off, s[96:99], 0 offset:32 ; 4-byte Folded Reload
	buffer_load_dword v1, off, s[96:99], 0 offset:36 ; 4-byte Folded Reload
	s_waitcnt vmcnt(1)
	v_add_co_u32_e32 v0, vcc, v5, v0
	s_waitcnt vmcnt(0)
	v_addc_co_u32_e32 v1, vcc, v52, v1, vcc
	global_load_dwordx2 v[80:81], v[0:1], off
.LBB15_15:                              ;   in Loop: Header=BB15_7 Depth=2
	s_or_b64 exec, exec, s[64:65]
	global_load_dwordx2 v[82:83], v[2:3], off offset:32
	s_mov_b64 s[64:65], exec
	v_readlane_b32 vcc_lo, v127, 1
	v_readlane_b32 vcc_hi, v127, 2
	s_and_b64 vcc, s[64:65], vcc
	s_mov_b64 exec, vcc
	s_cbranch_execz .LBB15_17
; %bb.16:                               ;   in Loop: Header=BB15_7 Depth=2
	buffer_load_dword v0, off, s[96:99], 0 offset:40 ; 4-byte Folded Reload
	buffer_load_dword v1, off, s[96:99], 0 offset:44 ; 4-byte Folded Reload
	s_waitcnt vmcnt(1)
	v_add_co_u32_e32 v0, vcc, v5, v0
	s_waitcnt vmcnt(0)
	v_addc_co_u32_e32 v1, vcc, v52, v1, vcc
	global_load_dwordx2 v[78:79], v[0:1], off
.LBB15_17:                              ;   in Loop: Header=BB15_7 Depth=2
	;; [unrolled: 36-line block ×4, first 2 shown]
	s_or_b64 exec, exec, s[64:65]
	global_load_dwordx2 v[100:101], v[2:3], off offset:72
	v_pk_mov_b32 v[102:103], 0, 0
	v_pk_mov_b32 v[104:105], v[102:103], v[102:103] op_sel:[0,1]
	s_and_saveexec_b64 s[64:65], s[66:67]
	s_cbranch_execz .LBB15_27
; %bb.26:                               ;   in Loop: Header=BB15_7 Depth=2
	buffer_load_dword v0, off, s[96:99], 0 offset:80 ; 4-byte Folded Reload
	buffer_load_dword v1, off, s[96:99], 0 offset:84 ; 4-byte Folded Reload
	s_waitcnt vmcnt(1)
	v_add_co_u32_e32 v0, vcc, v5, v0
	s_waitcnt vmcnt(0)
	v_addc_co_u32_e32 v1, vcc, v52, v1, vcc
	global_load_dwordx2 v[104:105], v[0:1], off
.LBB15_27:                              ;   in Loop: Header=BB15_7 Depth=2
	s_or_b64 exec, exec, s[64:65]
	global_load_dwordx2 v[106:107], v[2:3], off offset:80
	s_mov_b64 s[64:65], exec
	v_readlane_b32 vcc_lo, v127, 11
	v_readlane_b32 vcc_hi, v127, 12
	s_and_b64 vcc, s[64:65], vcc
	s_mov_b64 exec, vcc
	s_cbranch_execz .LBB15_29
; %bb.28:                               ;   in Loop: Header=BB15_7 Depth=2
	buffer_load_dword v0, off, s[96:99], 0 offset:88 ; 4-byte Folded Reload
	buffer_load_dword v1, off, s[96:99], 0 offset:92 ; 4-byte Folded Reload
	s_waitcnt vmcnt(1)
	v_add_co_u32_e32 v0, vcc, v5, v0
	s_waitcnt vmcnt(0)
	v_addc_co_u32_e32 v1, vcc, v52, v1, vcc
	global_load_dwordx2 v[102:103], v[0:1], off
.LBB15_29:                              ;   in Loop: Header=BB15_7 Depth=2
	s_or_b64 exec, exec, s[64:65]
	global_load_dwordx2 v[108:109], v[2:3], off offset:88
	v_pk_mov_b32 v[110:111], 0, 0
	v_pk_mov_b32 v[112:113], v[110:111], v[110:111] op_sel:[0,1]
	s_and_saveexec_b64 s[64:65], s[90:91]
	s_cbranch_execz .LBB15_31
; %bb.30:                               ;   in Loop: Header=BB15_7 Depth=2
	buffer_load_dword v0, off, s[96:99], 0 offset:96 ; 4-byte Folded Reload
	buffer_load_dword v1, off, s[96:99], 0 offset:100 ; 4-byte Folded Reload
	s_waitcnt vmcnt(1)
	v_add_co_u32_e32 v0, vcc, v5, v0
	s_waitcnt vmcnt(0)
	v_addc_co_u32_e32 v1, vcc, v52, v1, vcc
	global_load_dwordx2 v[112:113], v[0:1], off
.LBB15_31:                              ;   in Loop: Header=BB15_7 Depth=2
	s_or_b64 exec, exec, s[64:65]
	global_load_dwordx2 v[114:115], v[2:3], off offset:96
	s_and_saveexec_b64 s[64:65], s[56:57]
	s_cbranch_execz .LBB15_33
; %bb.32:                               ;   in Loop: Header=BB15_7 Depth=2
	buffer_load_dword v0, off, s[96:99], 0 offset:104 ; 4-byte Folded Reload
	buffer_load_dword v1, off, s[96:99], 0 offset:108 ; 4-byte Folded Reload
	s_waitcnt vmcnt(1)
	v_add_co_u32_e32 v0, vcc, v5, v0
	s_waitcnt vmcnt(0)
	v_addc_co_u32_e32 v1, vcc, v52, v1, vcc
	global_load_dwordx2 v[110:111], v[0:1], off
.LBB15_33:                              ;   in Loop: Header=BB15_7 Depth=2
	s_or_b64 exec, exec, s[64:65]
	global_load_dwordx2 v[116:117], v[2:3], off offset:104
	v_pk_mov_b32 v[118:119], 0, 0
	v_pk_mov_b32 v[120:121], v[118:119], v[118:119] op_sel:[0,1]
	s_and_saveexec_b64 s[64:65], s[58:59]
	s_cbranch_execz .LBB15_35
; %bb.34:                               ;   in Loop: Header=BB15_7 Depth=2
	buffer_load_dword v0, off, s[96:99], 0 offset:112 ; 4-byte Folded Reload
	buffer_load_dword v1, off, s[96:99], 0 offset:116 ; 4-byte Folded Reload
	s_waitcnt vmcnt(1)
	v_add_co_u32_e32 v0, vcc, v5, v0
	s_waitcnt vmcnt(0)
	v_addc_co_u32_e32 v1, vcc, v52, v1, vcc
	global_load_dwordx2 v[120:121], v[0:1], off
.LBB15_35:                              ;   in Loop: Header=BB15_7 Depth=2
	s_or_b64 exec, exec, s[64:65]
	global_load_dwordx2 v[122:123], v[2:3], off offset:112
	s_and_saveexec_b64 s[64:65], s[60:61]
	s_cbranch_execz .LBB15_37
; %bb.36:                               ;   in Loop: Header=BB15_7 Depth=2
	buffer_load_dword v0, off, s[96:99], 0 offset:120 ; 4-byte Folded Reload
	buffer_load_dword v1, off, s[96:99], 0 offset:124 ; 4-byte Folded Reload
	s_waitcnt vmcnt(1)
	v_add_co_u32_e32 v0, vcc, v5, v0
	s_waitcnt vmcnt(0)
	v_addc_co_u32_e32 v1, vcc, v52, v1, vcc
	global_load_dwordx2 v[118:119], v[0:1], off
.LBB15_37:                              ;   in Loop: Header=BB15_7 Depth=2
	s_or_b64 exec, exec, s[64:65]
	global_load_dwordx2 v[124:125], v[2:3], off offset:120
	v_pk_mov_b32 v[0:1], 0, 0
	v_pk_mov_b32 v[8:9], v[0:1], v[0:1] op_sel:[0,1]
	s_and_saveexec_b64 s[64:65], s[62:63]
	s_cbranch_execz .LBB15_39
; %bb.38:                               ;   in Loop: Header=BB15_7 Depth=2
	buffer_load_dword v8, off, s[96:99], 0 offset:128 ; 4-byte Folded Reload
	buffer_load_dword v9, off, s[96:99], 0 offset:132 ; 4-byte Folded Reload
	s_waitcnt vmcnt(1)
	v_add_co_u32_e32 v8, vcc, v5, v8
	s_waitcnt vmcnt(0)
	v_addc_co_u32_e32 v9, vcc, v52, v9, vcc
	global_load_dwordx2 v[8:9], v[8:9], off
.LBB15_39:                              ;   in Loop: Header=BB15_7 Depth=2
	s_or_b64 exec, exec, s[64:65]
	global_load_dwordx2 v[10:11], v[2:3], off offset:128
	s_and_saveexec_b64 s[64:65], s[68:69]
	s_cbranch_execz .LBB15_41
; %bb.40:                               ;   in Loop: Header=BB15_7 Depth=2
	buffer_load_dword v0, off, s[96:99], 0 offset:136 ; 4-byte Folded Reload
	buffer_load_dword v1, off, s[96:99], 0 offset:140 ; 4-byte Folded Reload
	s_waitcnt vmcnt(1)
	v_add_co_u32_e32 v0, vcc, v5, v0
	s_waitcnt vmcnt(0)
	v_addc_co_u32_e32 v1, vcc, v52, v1, vcc
	global_load_dwordx2 v[0:1], v[0:1], off
.LBB15_41:                              ;   in Loop: Header=BB15_7 Depth=2
	s_or_b64 exec, exec, s[64:65]
	global_load_dwordx2 v[12:13], v[2:3], off offset:136
	v_pk_mov_b32 v[14:15], 0, 0
	v_pk_mov_b32 v[16:17], v[14:15], v[14:15] op_sel:[0,1]
	s_and_saveexec_b64 s[64:65], s[70:71]
	s_cbranch_execz .LBB15_43
; %bb.42:                               ;   in Loop: Header=BB15_7 Depth=2
	buffer_load_dword v16, off, s[96:99], 0 offset:144 ; 4-byte Folded Reload
	buffer_load_dword v17, off, s[96:99], 0 offset:148 ; 4-byte Folded Reload
	s_waitcnt vmcnt(1)
	v_add_co_u32_e32 v16, vcc, v5, v16
	s_waitcnt vmcnt(0)
	v_addc_co_u32_e32 v17, vcc, v52, v17, vcc
	global_load_dwordx2 v[16:17], v[16:17], off
.LBB15_43:                              ;   in Loop: Header=BB15_7 Depth=2
	s_or_b64 exec, exec, s[64:65]
	global_load_dwordx2 v[18:19], v[2:3], off offset:144
	s_and_saveexec_b64 s[64:65], s[88:89]
	s_cbranch_execz .LBB15_45
; %bb.44:                               ;   in Loop: Header=BB15_7 Depth=2
	buffer_load_dword v14, off, s[96:99], 0 offset:152 ; 4-byte Folded Reload
	buffer_load_dword v15, off, s[96:99], 0 offset:156 ; 4-byte Folded Reload
	s_waitcnt vmcnt(1)
	v_add_co_u32_e32 v14, vcc, v5, v14
	s_waitcnt vmcnt(0)
	v_addc_co_u32_e32 v15, vcc, v52, v15, vcc
	global_load_dwordx2 v[14:15], v[14:15], off
.LBB15_45:                              ;   in Loop: Header=BB15_7 Depth=2
	s_or_b64 exec, exec, s[64:65]
	global_load_dwordx2 v[20:21], v[2:3], off offset:152
	v_pk_mov_b32 v[22:23], 0, 0
	v_pk_mov_b32 v[24:25], v[22:23], v[22:23] op_sel:[0,1]
	s_and_saveexec_b64 s[64:65], s[82:83]
	s_cbranch_execz .LBB15_47
; %bb.46:                               ;   in Loop: Header=BB15_7 Depth=2
	buffer_load_dword v24, off, s[96:99], 0 offset:160 ; 4-byte Folded Reload
	buffer_load_dword v25, off, s[96:99], 0 offset:164 ; 4-byte Folded Reload
	s_waitcnt vmcnt(1)
	v_add_co_u32_e32 v24, vcc, v5, v24
	s_waitcnt vmcnt(0)
	v_addc_co_u32_e32 v25, vcc, v52, v25, vcc
	global_load_dwordx2 v[24:25], v[24:25], off
.LBB15_47:                              ;   in Loop: Header=BB15_7 Depth=2
	s_or_b64 exec, exec, s[64:65]
	global_load_dwordx2 v[26:27], v[2:3], off offset:160
	s_and_saveexec_b64 s[64:65], s[92:93]
	s_cbranch_execz .LBB15_49
; %bb.48:                               ;   in Loop: Header=BB15_7 Depth=2
	buffer_load_dword v22, off, s[96:99], 0 offset:168 ; 4-byte Folded Reload
	buffer_load_dword v23, off, s[96:99], 0 offset:172 ; 4-byte Folded Reload
	s_waitcnt vmcnt(1)
	v_add_co_u32_e32 v22, vcc, v5, v22
	s_waitcnt vmcnt(0)
	v_addc_co_u32_e32 v23, vcc, v52, v23, vcc
	global_load_dwordx2 v[22:23], v[22:23], off
.LBB15_49:                              ;   in Loop: Header=BB15_7 Depth=2
	s_or_b64 exec, exec, s[64:65]
	global_load_dwordx2 v[28:29], v[2:3], off offset:168
	v_pk_mov_b32 v[30:31], 0, 0
	v_pk_mov_b32 v[32:33], v[30:31], v[30:31] op_sel:[0,1]
	s_and_saveexec_b64 s[64:65], s[94:95]
	s_cbranch_execz .LBB15_51
; %bb.50:                               ;   in Loop: Header=BB15_7 Depth=2
	buffer_load_dword v32, off, s[96:99], 0 offset:176 ; 4-byte Folded Reload
	buffer_load_dword v33, off, s[96:99], 0 offset:180 ; 4-byte Folded Reload
	s_waitcnt vmcnt(1)
	v_add_co_u32_e32 v32, vcc, v5, v32
	s_waitcnt vmcnt(0)
	v_addc_co_u32_e32 v33, vcc, v52, v33, vcc
	global_load_dwordx2 v[32:33], v[32:33], off
.LBB15_51:                              ;   in Loop: Header=BB15_7 Depth=2
	s_or_b64 exec, exec, s[64:65]
	global_load_dwordx2 v[34:35], v[2:3], off offset:176
	s_and_saveexec_b64 s[64:65], s[80:81]
	s_cbranch_execz .LBB15_53
; %bb.52:                               ;   in Loop: Header=BB15_7 Depth=2
	buffer_load_dword v30, off, s[96:99], 0 offset:184 ; 4-byte Folded Reload
	buffer_load_dword v31, off, s[96:99], 0 offset:188 ; 4-byte Folded Reload
	s_waitcnt vmcnt(1)
	v_add_co_u32_e32 v30, vcc, v5, v30
	s_waitcnt vmcnt(0)
	v_addc_co_u32_e32 v31, vcc, v52, v31, vcc
	global_load_dwordx2 v[30:31], v[30:31], off
.LBB15_53:                              ;   in Loop: Header=BB15_7 Depth=2
	s_or_b64 exec, exec, s[64:65]
	global_load_dwordx2 v[36:37], v[2:3], off offset:184
	v_pk_mov_b32 v[38:39], 0, 0
	v_pk_mov_b32 v[40:41], v[38:39], v[38:39] op_sel:[0,1]
	s_and_saveexec_b64 s[64:65], s[86:87]
	s_cbranch_execz .LBB15_55
; %bb.54:                               ;   in Loop: Header=BB15_7 Depth=2
	v_add_co_u32_e32 v40, vcc, v5, v54
	v_addc_co_u32_e32 v41, vcc, v52, v55, vcc
	global_load_dwordx2 v[40:41], v[40:41], off
.LBB15_55:                              ;   in Loop: Header=BB15_7 Depth=2
	s_or_b64 exec, exec, s[64:65]
	global_load_dwordx2 v[42:43], v[2:3], off offset:192
	s_and_saveexec_b64 s[64:65], s[84:85]
	s_cbranch_execz .LBB15_57
; %bb.56:                               ;   in Loop: Header=BB15_7 Depth=2
	v_add_co_u32_e32 v38, vcc, v5, v56
	v_addc_co_u32_e32 v39, vcc, v52, v57, vcc
	global_load_dwordx2 v[38:39], v[38:39], off
.LBB15_57:                              ;   in Loop: Header=BB15_7 Depth=2
	s_or_b64 exec, exec, s[64:65]
	global_load_dwordx2 v[44:45], v[2:3], off offset:200
	v_pk_mov_b32 v[46:47], 0, 0
	v_pk_mov_b32 v[48:49], v[46:47], v[46:47] op_sel:[0,1]
	s_and_saveexec_b64 s[64:65], s[76:77]
	s_cbranch_execz .LBB15_59
; %bb.58:                               ;   in Loop: Header=BB15_7 Depth=2
	v_add_co_u32_e32 v48, vcc, v5, v58
	v_addc_co_u32_e32 v49, vcc, v52, v59, vcc
	global_load_dwordx2 v[48:49], v[48:49], off
.LBB15_59:                              ;   in Loop: Header=BB15_7 Depth=2
	s_or_b64 exec, exec, s[64:65]
	global_load_dwordx2 v[50:51], v[2:3], off offset:208
	s_and_saveexec_b64 s[64:65], s[78:79]
	s_cbranch_execz .LBB15_6
; %bb.60:                               ;   in Loop: Header=BB15_7 Depth=2
	v_add_co_u32_e32 v46, vcc, v5, v60
	v_addc_co_u32_e32 v47, vcc, v52, v61, vcc
	global_load_dwordx2 v[46:47], v[46:47], off
	s_branch .LBB15_6
.LBB15_61:
	s_endpgm
	.section	.rodata,"a",@progbits
	.p2align	6, 0x0
	.amdhsa_kernel _ZN2at6native12_GLOBAL__N_143conv_depthwise3d_cuda_backward_input_kernelIddLi3ELi3ELi3ELin1ELin1ELin1ELin1ELin1ELin1EEEvN5torch10headeronly6detail27GenericPackedTensorAccessorINS5_14TensorAccessorIN3c108ArrayRefIlEEKT_Lm4ENS4_16DefaultPtrTraitsEiEENS_6detail16IndexBoundsCheckILm5EiEESC_Lm5ESD_iEENS6_INS7_ISA_SB_Lm4ESD_iEESH_SB_Lm5ESD_iEESI_iiiiiiiii
		.amdhsa_group_segment_fixed_size 0
		.amdhsa_private_segment_fixed_size 252
		.amdhsa_kernarg_size 440
		.amdhsa_user_sgpr_count 6
		.amdhsa_user_sgpr_private_segment_buffer 1
		.amdhsa_user_sgpr_dispatch_ptr 0
		.amdhsa_user_sgpr_queue_ptr 0
		.amdhsa_user_sgpr_kernarg_segment_ptr 1
		.amdhsa_user_sgpr_dispatch_id 0
		.amdhsa_user_sgpr_flat_scratch_init 0
		.amdhsa_user_sgpr_kernarg_preload_length 0
		.amdhsa_user_sgpr_kernarg_preload_offset 0
		.amdhsa_user_sgpr_private_segment_size 0
		.amdhsa_uses_dynamic_stack 0
		.amdhsa_system_sgpr_private_segment_wavefront_offset 1
		.amdhsa_system_sgpr_workgroup_id_x 1
		.amdhsa_system_sgpr_workgroup_id_y 0
		.amdhsa_system_sgpr_workgroup_id_z 0
		.amdhsa_system_sgpr_workgroup_info 0
		.amdhsa_system_vgpr_workitem_id 0
		.amdhsa_next_free_vgpr 128
		.amdhsa_next_free_sgpr 100
		.amdhsa_accum_offset 128
		.amdhsa_reserve_vcc 1
		.amdhsa_reserve_flat_scratch 0
		.amdhsa_float_round_mode_32 0
		.amdhsa_float_round_mode_16_64 0
		.amdhsa_float_denorm_mode_32 3
		.amdhsa_float_denorm_mode_16_64 3
		.amdhsa_dx10_clamp 1
		.amdhsa_ieee_mode 1
		.amdhsa_fp16_overflow 0
		.amdhsa_tg_split 0
		.amdhsa_exception_fp_ieee_invalid_op 0
		.amdhsa_exception_fp_denorm_src 0
		.amdhsa_exception_fp_ieee_div_zero 0
		.amdhsa_exception_fp_ieee_overflow 0
		.amdhsa_exception_fp_ieee_underflow 0
		.amdhsa_exception_fp_ieee_inexact 0
		.amdhsa_exception_int_div_zero 0
	.end_amdhsa_kernel
	.section	.text._ZN2at6native12_GLOBAL__N_143conv_depthwise3d_cuda_backward_input_kernelIddLi3ELi3ELi3ELin1ELin1ELin1ELin1ELin1ELin1EEEvN5torch10headeronly6detail27GenericPackedTensorAccessorINS5_14TensorAccessorIN3c108ArrayRefIlEEKT_Lm4ENS4_16DefaultPtrTraitsEiEENS_6detail16IndexBoundsCheckILm5EiEESC_Lm5ESD_iEENS6_INS7_ISA_SB_Lm4ESD_iEESH_SB_Lm5ESD_iEESI_iiiiiiiii,"axG",@progbits,_ZN2at6native12_GLOBAL__N_143conv_depthwise3d_cuda_backward_input_kernelIddLi3ELi3ELi3ELin1ELin1ELin1ELin1ELin1ELin1EEEvN5torch10headeronly6detail27GenericPackedTensorAccessorINS5_14TensorAccessorIN3c108ArrayRefIlEEKT_Lm4ENS4_16DefaultPtrTraitsEiEENS_6detail16IndexBoundsCheckILm5EiEESC_Lm5ESD_iEENS6_INS7_ISA_SB_Lm4ESD_iEESH_SB_Lm5ESD_iEESI_iiiiiiiii,comdat
.Lfunc_end15:
	.size	_ZN2at6native12_GLOBAL__N_143conv_depthwise3d_cuda_backward_input_kernelIddLi3ELi3ELi3ELin1ELin1ELin1ELin1ELin1ELin1EEEvN5torch10headeronly6detail27GenericPackedTensorAccessorINS5_14TensorAccessorIN3c108ArrayRefIlEEKT_Lm4ENS4_16DefaultPtrTraitsEiEENS_6detail16IndexBoundsCheckILm5EiEESC_Lm5ESD_iEENS6_INS7_ISA_SB_Lm4ESD_iEESH_SB_Lm5ESD_iEESI_iiiiiiiii, .Lfunc_end15-_ZN2at6native12_GLOBAL__N_143conv_depthwise3d_cuda_backward_input_kernelIddLi3ELi3ELi3ELin1ELin1ELin1ELin1ELin1ELin1EEEvN5torch10headeronly6detail27GenericPackedTensorAccessorINS5_14TensorAccessorIN3c108ArrayRefIlEEKT_Lm4ENS4_16DefaultPtrTraitsEiEENS_6detail16IndexBoundsCheckILm5EiEESC_Lm5ESD_iEENS6_INS7_ISA_SB_Lm4ESD_iEESH_SB_Lm5ESD_iEESI_iiiiiiiii
                                        ; -- End function
	.section	.AMDGPU.csdata,"",@progbits
; Kernel info:
; codeLenInByte = 8432
; NumSgprs: 104
; NumVgprs: 128
; NumAgprs: 0
; TotalNumVgprs: 128
; ScratchSize: 252
; MemoryBound: 0
; FloatMode: 240
; IeeeMode: 1
; LDSByteSize: 0 bytes/workgroup (compile time only)
; SGPRBlocks: 12
; VGPRBlocks: 15
; NumSGPRsForWavesPerEU: 104
; NumVGPRsForWavesPerEU: 128
; AccumOffset: 128
; Occupancy: 4
; WaveLimiterHint : 0
; COMPUTE_PGM_RSRC2:SCRATCH_EN: 1
; COMPUTE_PGM_RSRC2:USER_SGPR: 6
; COMPUTE_PGM_RSRC2:TRAP_HANDLER: 0
; COMPUTE_PGM_RSRC2:TGID_X_EN: 1
; COMPUTE_PGM_RSRC2:TGID_Y_EN: 0
; COMPUTE_PGM_RSRC2:TGID_Z_EN: 0
; COMPUTE_PGM_RSRC2:TIDIG_COMP_CNT: 0
; COMPUTE_PGM_RSRC3_GFX90A:ACCUM_OFFSET: 31
; COMPUTE_PGM_RSRC3_GFX90A:TG_SPLIT: 0
	.section	.text._ZN2at6native12_GLOBAL__N_143conv_depthwise3d_cuda_backward_input_kernelIddLin1ELin1ELin1ELin1ELin1ELin1ELin1ELin1ELin1EEEvN5torch10headeronly6detail27GenericPackedTensorAccessorINS5_14TensorAccessorIN3c108ArrayRefIlEEKT_Lm4ENS4_16DefaultPtrTraitsEiEENS_6detail16IndexBoundsCheckILm5EiEESC_Lm5ESD_iEENS6_INS7_ISA_SB_Lm4ESD_iEESH_SB_Lm5ESD_iEESI_iiiiiiiii,"axG",@progbits,_ZN2at6native12_GLOBAL__N_143conv_depthwise3d_cuda_backward_input_kernelIddLin1ELin1ELin1ELin1ELin1ELin1ELin1ELin1ELin1EEEvN5torch10headeronly6detail27GenericPackedTensorAccessorINS5_14TensorAccessorIN3c108ArrayRefIlEEKT_Lm4ENS4_16DefaultPtrTraitsEiEENS_6detail16IndexBoundsCheckILm5EiEESC_Lm5ESD_iEENS6_INS7_ISA_SB_Lm4ESD_iEESH_SB_Lm5ESD_iEESI_iiiiiiiii,comdat
	.globl	_ZN2at6native12_GLOBAL__N_143conv_depthwise3d_cuda_backward_input_kernelIddLin1ELin1ELin1ELin1ELin1ELin1ELin1ELin1ELin1EEEvN5torch10headeronly6detail27GenericPackedTensorAccessorINS5_14TensorAccessorIN3c108ArrayRefIlEEKT_Lm4ENS4_16DefaultPtrTraitsEiEENS_6detail16IndexBoundsCheckILm5EiEESC_Lm5ESD_iEENS6_INS7_ISA_SB_Lm4ESD_iEESH_SB_Lm5ESD_iEESI_iiiiiiiii ; -- Begin function _ZN2at6native12_GLOBAL__N_143conv_depthwise3d_cuda_backward_input_kernelIddLin1ELin1ELin1ELin1ELin1ELin1ELin1ELin1ELin1EEEvN5torch10headeronly6detail27GenericPackedTensorAccessorINS5_14TensorAccessorIN3c108ArrayRefIlEEKT_Lm4ENS4_16DefaultPtrTraitsEiEENS_6detail16IndexBoundsCheckILm5EiEESC_Lm5ESD_iEENS6_INS7_ISA_SB_Lm4ESD_iEESH_SB_Lm5ESD_iEESI_iiiiiiiii
	.p2align	8
	.type	_ZN2at6native12_GLOBAL__N_143conv_depthwise3d_cuda_backward_input_kernelIddLin1ELin1ELin1ELin1ELin1ELin1ELin1ELin1ELin1EEEvN5torch10headeronly6detail27GenericPackedTensorAccessorINS5_14TensorAccessorIN3c108ArrayRefIlEEKT_Lm4ENS4_16DefaultPtrTraitsEiEENS_6detail16IndexBoundsCheckILm5EiEESC_Lm5ESD_iEENS6_INS7_ISA_SB_Lm4ESD_iEESH_SB_Lm5ESD_iEESI_iiiiiiiii,@function
_ZN2at6native12_GLOBAL__N_143conv_depthwise3d_cuda_backward_input_kernelIddLin1ELin1ELin1ELin1ELin1ELin1ELin1ELin1ELin1EEEvN5torch10headeronly6detail27GenericPackedTensorAccessorINS5_14TensorAccessorIN3c108ArrayRefIlEEKT_Lm4ENS4_16DefaultPtrTraitsEiEENS_6detail16IndexBoundsCheckILm5EiEESC_Lm5ESD_iEENS6_INS7_ISA_SB_Lm4ESD_iEESH_SB_Lm5ESD_iEESI_iiiiiiiii: ; @_ZN2at6native12_GLOBAL__N_143conv_depthwise3d_cuda_backward_input_kernelIddLin1ELin1ELin1ELin1ELin1ELin1ELin1ELin1ELin1EEEvN5torch10headeronly6detail27GenericPackedTensorAccessorINS5_14TensorAccessorIN3c108ArrayRefIlEEKT_Lm4ENS4_16DefaultPtrTraitsEiEENS_6detail16IndexBoundsCheckILm5EiEESC_Lm5ESD_iEENS6_INS7_ISA_SB_Lm4ESD_iEESH_SB_Lm5ESD_iEESI_iiiiiiiii
; %bb.0:
	s_load_dwordx4 s[20:23], s[4:5], 0x38
	s_load_dwordx2 s[10:11], s[4:5], 0x48
	s_load_dword s2, s[4:5], 0xc4
	v_mov_b32_e32 v1, 0
	v_mov_b32_e32 v3, s6
	s_waitcnt lgkmcnt(0)
	s_abs_i32 s33, s21
	v_cvt_f32_u32_e32 v2, s33
	s_add_u32 s0, s4, 0xb8
	s_mul_i32 s34, s11, s20
	s_addc_u32 s1, s5, 0
	v_rcp_iflag_f32_e32 v2, v2
	s_and_b32 s2, s2, 0xffff
	s_ashr_i32 s35, s34, 31
	v_mad_u64_u32 v[0:1], s[6:7], s2, v3, v[0:1]
	v_mul_f32_e32 v2, 0x4f7ffffe, v2
	v_cvt_u32_f32_e32 v2, v2
	v_cmp_gt_i64_e32 vcc, s[34:35], v[0:1]
	v_readfirstlane_b32 s3, v2
	s_and_saveexec_b64 s[6:7], vcc
	s_cbranch_execz .LBB16_18
; %bb.1:
	s_load_dwordx4 s[24:27], s[4:5], 0xc
	s_load_dwordx2 s[40:41], s[4:5], 0x0
	s_sub_i32 s8, 0, s33
	s_mul_i32 s9, s8, s3
	s_mul_hi_u32 s9, s3, s9
	s_waitcnt lgkmcnt(0)
	s_abs_i32 s7, s24
	s_add_i32 s3, s3, s9
	s_mul_hi_u32 s3, s7, s3
	s_mul_i32 s9, s3, s33
	s_ashr_i32 s20, s21, 31
	s_ashr_i32 s6, s24, 31
	s_sub_i32 s7, s7, s9
	s_xor_b32 s6, s6, s20
	s_add_i32 s9, s3, 1
	s_sub_i32 s28, s7, s33
	s_cmp_ge_u32 s7, s33
	s_cselect_b32 s3, s9, s3
	s_cselect_b32 s7, s28, s7
	s_add_i32 s9, s3, 1
	s_load_dwordx4 s[28:31], s[4:5], 0x70
	s_load_dword s65, s[4:5], 0x7c
	s_cmp_ge_u32 s7, s33
	s_cselect_b32 s3, s9, s3
	s_xor_b32 s3, s3, s6
	s_waitcnt lgkmcnt(0)
	s_sub_i32 s31, s3, s6
	s_cmp_gt_i32 s28, 0
	s_cselect_b64 s[42:43], -1, 0
	s_cmp_gt_i32 s29, 0
	s_cselect_b64 s[44:45], -1, 0
	s_cmp_gt_i32 s30, 0
	s_cselect_b64 s[46:47], -1, 0
	s_abs_i32 s66, s10
	v_cvt_f32_u32_e32 v3, s66
	s_abs_i32 s69, s23
	v_cvt_f32_u32_e32 v4, s69
	s_load_dwordx8 s[12:19], s[4:5], 0x90
	s_load_dword s24, s[4:5], 0xb0
	v_rcp_iflag_f32_e32 v3, v3
	s_load_dword s3, s[0:1], 0x0
	s_load_dwordx2 s[48:49], s[4:5], 0x1c
	s_load_dwordx2 s[50:51], s[4:5], 0x30
	s_sub_i32 s0, 0, s66
	s_abs_i32 s70, s22
	v_mul_f32_e32 v3, 0x4f7ffffe, v3
	v_cvt_u32_f32_e32 v3, v3
	v_rcp_iflag_f32_e32 v4, v4
	s_waitcnt lgkmcnt(0)
	s_abs_i32 s73, s12
	s_abs_i32 s75, s13
	v_mul_lo_u32 v5, s0, v3
	v_mul_hi_u32 v5, v3, v5
	v_add_u32_e32 v10, v3, v5
	v_cvt_f32_u32_e32 v3, s70
	v_mul_f32_e32 v4, 0x4f7ffffe, v4
	v_cvt_u32_f32_e32 v4, v4
	s_sub_i32 s0, 0, s69
	v_rcp_iflag_f32_e32 v3, v3
	s_abs_i32 s76, s14
	v_mul_lo_u32 v5, s0, v4
	v_mul_hi_u32 v5, v4, v5
	v_mul_f32_e32 v3, 0x4f7ffffe, v3
	v_cvt_u32_f32_e32 v3, v3
	v_add_u32_e32 v11, v4, v5
	v_cvt_f32_u32_e32 v5, s73
	s_sub_i32 s0, 0, s70
	v_mul_lo_u32 v4, s0, v3
	v_mul_hi_u32 v4, v3, v4
	v_add_u32_e32 v12, v3, v4
	v_rcp_iflag_f32_e32 v4, v5
	v_mul_lo_u32 v3, s8, v2
	v_mul_hi_u32 v3, v2, v3
	v_add_u32_e32 v13, v2, v3
	v_mul_f32_e32 v2, 0x4f7ffffe, v4
	v_cvt_u32_f32_e32 v2, v2
	s_sub_i32 s0, 0, s73
	v_cvt_f32_u32_e32 v3, s75
	s_load_dwordx2 s[52:53], s[4:5], 0x60
	s_load_dwordx4 s[36:39], s[4:5], 0x50
	v_mul_lo_u32 v4, s0, v2
	v_mul_hi_u32 v4, v2, v4
	v_add_u32_e32 v14, v2, v4
	v_cvt_f32_u32_e32 v2, s76
	v_rcp_iflag_f32_e32 v3, v3
	s_sub_i32 s0, 0, s75
	s_mov_b32 s64, 0
	v_rcp_iflag_f32_e32 v2, v2
	v_mul_f32_e32 v3, 0x4f7ffffe, v3
	v_cvt_u32_f32_e32 v3, v3
	s_mul_i32 s67, s3, s2
	v_mul_f32_e32 v2, 0x4f7ffffe, v2
	v_cvt_u32_f32_e32 v2, v2
	v_mul_lo_u32 v4, s0, v3
	v_mul_hi_u32 v4, v3, v4
	s_sub_i32 s0, 0, s76
	v_add_u32_e32 v15, v3, v4
	v_mul_lo_u32 v3, s0, v2
	v_mul_hi_u32 v3, v2, v3
	s_ashr_i32 s68, s10, 31
	s_ashr_i32 s71, s23, 31
	;; [unrolled: 1-line block ×6, first 2 shown]
	v_add_u32_e32 v16, v2, v3
	s_mov_b64 s[54:55], 0
	s_branch .LBB16_4
.LBB16_2:                               ;   in Loop: Header=BB16_4 Depth=1
	s_or_b64 exec, exec, s[58:59]
.LBB16_3:                               ;   in Loop: Header=BB16_4 Depth=1
	s_or_b64 exec, exec, s[56:57]
	v_mul_lo_u32 v4, v21, s11
	v_ashrrev_i32_e32 v5, 31, v4
	v_lshlrev_b64 v[4:5], 3, v[4:5]
	v_mov_b32_e32 v6, s51
	v_add_co_u32_e32 v7, vcc, s50, v4
	s_waitcnt lgkmcnt(0)
	v_mul_lo_u32 v4, s36, v20
	v_addc_co_u32_e32 v6, vcc, v6, v5, vcc
	v_ashrrev_i32_e32 v5, 31, v4
	v_lshlrev_b64 v[4:5], 3, v[4:5]
	v_add_co_u32_e32 v7, vcc, v7, v4
	v_mul_lo_u32 v4, s37, v19
	v_addc_co_u32_e32 v6, vcc, v6, v5, vcc
	v_ashrrev_i32_e32 v5, 31, v4
	v_lshlrev_b64 v[4:5], 3, v[4:5]
	v_add_co_u32_e32 v7, vcc, v7, v4
	;; [unrolled: 5-line block ×4, first 2 shown]
	v_addc_co_u32_e32 v5, vcc, v6, v5, vcc
	v_mov_b32_e32 v6, s64
	v_add_co_u32_e32 v0, vcc, s67, v0
	v_addc_co_u32_e32 v1, vcc, v1, v6, vcc
	v_cmp_le_i64_e32 vcc, s[34:35], v[0:1]
	s_or_b64 s[54:55], vcc, s[54:55]
	global_store_dwordx2 v[4:5], v[2:3], off
	s_andn2_b64 exec, exec, s[54:55]
	s_cbranch_execz .LBB16_18
.LBB16_4:                               ; =>This Loop Header: Depth=1
                                        ;     Child Loop BB16_7 Depth 2
                                        ;       Child Loop BB16_10 Depth 3
                                        ;         Child Loop BB16_13 Depth 4
                                        ;           Child Loop BB16_16 Depth 5
	v_sub_u32_e32 v3, 0, v0
	v_max_i32_e32 v3, v0, v3
	v_mul_hi_u32 v4, v3, v10
	v_mul_lo_u32 v5, v4, s66
	v_sub_u32_e32 v3, v3, v5
	v_add_u32_e32 v5, 1, v4
	v_cmp_le_u32_e32 vcc, s66, v3
	v_cndmask_b32_e32 v4, v4, v5, vcc
	v_subrev_u32_e32 v5, s66, v3
	v_cndmask_b32_e32 v3, v3, v5, vcc
	v_ashrrev_i32_e32 v2, 31, v0
	v_add_u32_e32 v5, 1, v4
	v_cmp_le_u32_e32 vcc, s66, v3
	v_xor_b32_e32 v2, s68, v2
	v_cndmask_b32_e32 v3, v4, v5, vcc
	v_xor_b32_e32 v3, v3, v2
	v_sub_u32_e32 v2, v3, v2
	v_sub_u32_e32 v4, 0, v2
	v_max_i32_e32 v4, v2, v4
	v_mul_hi_u32 v5, v4, v11
	v_mul_lo_u32 v6, v5, s69
	v_sub_u32_e32 v4, v4, v6
	v_add_u32_e32 v6, 1, v5
	v_cmp_le_u32_e32 vcc, s69, v4
	v_cndmask_b32_e32 v5, v5, v6, vcc
	v_subrev_u32_e32 v6, s69, v4
	v_mul_lo_u32 v3, v2, s10
	v_cndmask_b32_e32 v4, v4, v6, vcc
	v_sub_u32_e32 v17, v0, v3
	v_ashrrev_i32_e32 v3, 31, v2
	v_add_u32_e32 v6, 1, v5
	v_cmp_le_u32_e32 vcc, s69, v4
	v_xor_b32_e32 v3, s71, v3
	v_cndmask_b32_e32 v4, v5, v6, vcc
	v_xor_b32_e32 v4, v4, v3
	v_sub_u32_e32 v3, v4, v3
	v_mul_lo_u32 v4, v3, s23
	v_sub_u32_e32 v18, v2, v4
	v_sub_u32_e32 v4, 0, v3
	v_max_i32_e32 v4, v3, v4
	v_mul_hi_u32 v5, v4, v12
	v_mul_lo_u32 v6, v5, s70
	v_sub_u32_e32 v4, v4, v6
	v_add_u32_e32 v6, 1, v5
	v_cmp_le_u32_e32 vcc, s70, v4
	v_cndmask_b32_e32 v5, v5, v6, vcc
	v_subrev_u32_e32 v6, s70, v4
	v_cndmask_b32_e32 v4, v4, v6, vcc
	v_ashrrev_i32_e32 v2, 31, v3
	v_add_u32_e32 v6, 1, v5
	v_cmp_le_u32_e32 vcc, s70, v4
	v_xor_b32_e32 v2, s72, v2
	v_cndmask_b32_e32 v4, v5, v6, vcc
	v_xor_b32_e32 v4, v4, v2
	v_sub_u32_e32 v2, v4, v2
	v_mul_lo_u32 v4, v2, s22
	v_sub_u32_e32 v19, v3, v4
	v_sub_u32_e32 v4, 0, v2
	v_max_i32_e32 v4, v2, v4
	v_mul_hi_u32 v5, v4, v13
	v_mul_lo_u32 v6, v5, s33
	v_sub_u32_e32 v4, v4, v6
	v_add_u32_e32 v6, 1, v5
	v_cmp_le_u32_e32 vcc, s33, v4
	v_cndmask_b32_e32 v5, v5, v6, vcc
	v_subrev_u32_e32 v6, s33, v4
	v_cndmask_b32_e32 v4, v4, v6, vcc
	v_ashrrev_i32_e32 v3, 31, v2
	v_add_u32_e32 v6, 1, v5
	v_cmp_le_u32_e32 vcc, s33, v4
	v_xor_b32_e32 v3, s20, v3
	v_cndmask_b32_e32 v4, v5, v6, vcc
	v_xor_b32_e32 v4, v4, v3
	v_sub_u32_e32 v21, v4, v3
	v_mul_lo_u32 v3, v21, s21
	v_sub_u32_e32 v20, v2, v3
	v_mul_lo_u32 v22, v20, s31
	v_add_u32_e32 v23, s31, v22
	v_cmp_lt_i32_e32 vcc, v22, v23
	v_pk_mov_b32 v[2:3], 0, 0
	s_and_saveexec_b64 s[56:57], vcc
	s_cbranch_execz .LBB16_3
; %bb.5:                                ;   in Loop: Header=BB16_4 Depth=1
	v_mul_lo_u32 v2, s65, v22
	v_ashrrev_i32_e32 v3, 31, v2
	v_lshlrev_b64 v[2:3], 3, v[2:3]
	s_waitcnt lgkmcnt(0)
	v_mov_b32_e32 v5, s53
	v_add_co_u32_e32 v4, vcc, s52, v2
	v_mul_lo_u32 v2, s48, v21
	v_addc_co_u32_e32 v5, vcc, v5, v3, vcc
	v_ashrrev_i32_e32 v3, 31, v2
	v_lshlrev_b64 v[2:3], 3, v[2:3]
	v_mov_b32_e32 v6, s41
	v_add_co_u32_e32 v27, vcc, s40, v2
	v_add_u32_e32 v24, s17, v17
	v_add_u32_e32 v25, s16, v18
	;; [unrolled: 1-line block ×3, first 2 shown]
	v_addc_co_u32_e32 v28, vcc, v6, v3, vcc
	s_mov_b64 s[58:59], 0
	v_pk_mov_b32 v[2:3], 0, 0
	s_branch .LBB16_7
.LBB16_6:                               ;   in Loop: Header=BB16_7 Depth=2
	v_add_u32_e32 v22, 1, v22
	v_cmp_eq_u32_e32 vcc, v22, v23
	s_or_b64 s[58:59], vcc, s[58:59]
	s_andn2_b64 exec, exec, s[58:59]
	s_cbranch_execz .LBB16_2
.LBB16_7:                               ;   Parent Loop BB16_4 Depth=1
                                        ; =>  This Loop Header: Depth=2
                                        ;       Child Loop BB16_10 Depth 3
                                        ;         Child Loop BB16_13 Depth 4
                                        ;           Child Loop BB16_16 Depth 5
	s_andn2_b64 vcc, exec, s[42:43]
	s_cbranch_vccnz .LBB16_6
; %bb.8:                                ;   in Loop: Header=BB16_7 Depth=2
	v_mul_lo_u32 v6, s49, v22
	v_ashrrev_i32_e32 v7, 31, v6
	v_lshlrev_b64 v[6:7], 3, v[6:7]
	v_add_co_u32_e32 v29, vcc, v27, v6
	v_addc_co_u32_e32 v30, vcc, v28, v7, vcc
	s_mov_b32 s79, 0
	s_branch .LBB16_10
.LBB16_9:                               ;   in Loop: Header=BB16_10 Depth=3
	s_add_i32 s79, s79, 1
	s_cmp_eq_u32 s79, s28
	s_cbranch_scc1 .LBB16_6
.LBB16_10:                              ;   Parent Loop BB16_4 Depth=1
                                        ;     Parent Loop BB16_7 Depth=2
                                        ; =>    This Loop Header: Depth=3
                                        ;         Child Loop BB16_13 Depth 4
                                        ;           Child Loop BB16_16 Depth 5
	s_andn2_b64 vcc, exec, s[44:45]
	s_cbranch_vccnz .LBB16_9
; %bb.11:                               ;   in Loop: Header=BB16_10 Depth=3
	s_mul_i32 s0, s79, s18
	v_subrev_u32_e32 v6, s0, v26
	v_sub_u32_e32 v8, 0, v6
	v_max_i32_e32 v8, v6, v8
	v_mul_hi_u32 v9, v8, v14
	v_mul_lo_u32 v31, v9, s73
	v_sub_u32_e32 v8, v8, v31
	v_add_u32_e32 v31, 1, v9
	v_cmp_le_u32_e32 vcc, s73, v8
	v_cndmask_b32_e32 v9, v9, v31, vcc
	v_subrev_u32_e32 v31, s73, v8
	v_cndmask_b32_e32 v8, v8, v31, vcc
	v_ashrrev_i32_e32 v7, 31, v6
	v_add_u32_e32 v31, 1, v9
	v_cmp_le_u32_e32 vcc, s73, v8
	v_xor_b32_e32 v7, s74, v7
	v_cndmask_b32_e32 v8, v9, v31, vcc
	v_xor_b32_e32 v8, v8, v7
	v_sub_u32_e32 v7, v8, v7
	v_cmp_lt_i32_e64 s[0:1], -1, v7
	v_cmp_gt_i32_e64 s[2:3], s25, v7
	v_mul_lo_u32 v31, v7, s26
	v_mul_lo_u32 v7, v7, s12
	s_mov_b32 s80, 0
	v_cmp_eq_u32_e64 s[4:5], v7, v6
	s_branch .LBB16_13
.LBB16_12:                              ;   in Loop: Header=BB16_13 Depth=4
	s_add_i32 s80, s80, 1
	s_cmp_eq_u32 s80, s29
	s_cbranch_scc1 .LBB16_9
.LBB16_13:                              ;   Parent Loop BB16_4 Depth=1
                                        ;     Parent Loop BB16_7 Depth=2
                                        ;       Parent Loop BB16_10 Depth=3
                                        ; =>      This Loop Header: Depth=4
                                        ;           Child Loop BB16_16 Depth 5
	s_andn2_b64 vcc, exec, s[46:47]
	s_cbranch_vccnz .LBB16_12
; %bb.14:                               ;   in Loop: Header=BB16_13 Depth=4
	s_mul_i32 s6, s80, s19
	v_subrev_u32_e32 v6, s6, v25
	v_sub_u32_e32 v8, 0, v6
	v_max_i32_e32 v8, v6, v8
	v_mul_hi_u32 v9, v8, v15
	v_mul_lo_u32 v32, v9, s75
	v_sub_u32_e32 v8, v8, v32
	v_add_u32_e32 v32, 1, v9
	v_cmp_le_u32_e32 vcc, s75, v8
	v_cndmask_b32_e32 v9, v9, v32, vcc
	v_subrev_u32_e32 v32, s75, v8
	v_cndmask_b32_e32 v8, v8, v32, vcc
	v_ashrrev_i32_e32 v7, 31, v6
	v_add_u32_e32 v32, 1, v9
	v_cmp_le_u32_e32 vcc, s75, v8
	v_xor_b32_e32 v7, s77, v7
	v_cndmask_b32_e32 v8, v9, v32, vcc
	v_xor_b32_e32 v8, v8, v7
	v_sub_u32_e32 v7, v8, v7
	v_cmp_lt_i32_e32 vcc, -1, v7
	v_cmp_gt_i32_e64 s[6:7], s26, v7
	v_add_u32_e32 v8, v7, v31
	v_mul_lo_u32 v7, v7, s13
	v_cmp_eq_u32_e64 s[8:9], v7, v6
	v_mul_lo_u32 v32, v8, s27
	s_and_b64 s[60:61], s[4:5], s[8:9]
	s_mov_b32 s81, s30
	v_mov_b32_e32 v33, v24
	s_branch .LBB16_16
.LBB16_15:                              ;   in Loop: Header=BB16_16 Depth=5
	s_or_b64 exec, exec, s[62:63]
	v_add_co_u32_e64 v4, s[8:9], 8, v4
	v_addc_co_u32_e64 v5, s[8:9], 0, v5, s[8:9]
	v_mul_lo_u32 v34, v34, s14
	v_cmp_eq_u32_e64 s[8:9], v33, v34
	s_waitcnt vmcnt(0)
	v_fma_f64 v[6:7], v[6:7], v[8:9], v[2:3]
	s_and_b64 s[8:9], s[60:61], s[8:9]
	s_add_i32 s81, s81, -1
	v_cndmask_b32_e64 v3, v3, v7, s[8:9]
	v_cndmask_b32_e64 v2, v2, v6, s[8:9]
	s_cmp_eq_u32 s81, 0
	v_subrev_u32_e32 v33, s24, v33
	s_cbranch_scc1 .LBB16_12
.LBB16_16:                              ;   Parent Loop BB16_4 Depth=1
                                        ;     Parent Loop BB16_7 Depth=2
                                        ;       Parent Loop BB16_10 Depth=3
                                        ;         Parent Loop BB16_13 Depth=4
                                        ; =>        This Inner Loop Header: Depth=5
	global_load_dwordx2 v[6:7], v[4:5], off
	v_sub_u32_e32 v9, 0, v33
	v_max_i32_e32 v9, v33, v9
	v_mul_hi_u32 v34, v9, v16
	v_mul_lo_u32 v35, v34, s76
	v_sub_u32_e32 v9, v9, v35
	v_add_u32_e32 v35, 1, v34
	v_cmp_le_u32_e64 s[8:9], s76, v9
	v_cndmask_b32_e64 v34, v34, v35, s[8:9]
	v_subrev_u32_e32 v35, s76, v9
	v_cndmask_b32_e64 v9, v9, v35, s[8:9]
	v_ashrrev_i32_e32 v8, 31, v33
	v_add_u32_e32 v35, 1, v34
	v_cmp_le_u32_e64 s[8:9], s76, v9
	v_xor_b32_e32 v8, s78, v8
	v_cndmask_b32_e64 v9, v34, v35, s[8:9]
	v_xor_b32_e32 v9, v9, v8
	v_sub_u32_e32 v34, v9, v8
	v_cmp_lt_i32_e64 s[8:9], -1, v34
	s_and_b64 s[8:9], s[8:9], vcc
	s_and_b64 s[62:63], s[8:9], s[0:1]
	v_cmp_gt_i32_e64 s[8:9], s27, v34
	s_and_b64 s[8:9], s[8:9], s[62:63]
	s_and_b64 s[8:9], s[8:9], s[6:7]
	;; [unrolled: 1-line block ×3, first 2 shown]
	v_pk_mov_b32 v[8:9], 0, 0
	s_and_saveexec_b64 s[62:63], s[8:9]
	s_cbranch_execz .LBB16_15
; %bb.17:                               ;   in Loop: Header=BB16_16 Depth=5
	v_add_u32_e32 v8, v34, v32
	v_ashrrev_i32_e32 v9, 31, v8
	v_lshlrev_b64 v[8:9], 3, v[8:9]
	v_add_co_u32_e64 v8, s[8:9], v29, v8
	v_addc_co_u32_e64 v9, s[8:9], v30, v9, s[8:9]
	global_load_dwordx2 v[8:9], v[8:9], off
	s_branch .LBB16_15
.LBB16_18:
	s_endpgm
	.section	.rodata,"a",@progbits
	.p2align	6, 0x0
	.amdhsa_kernel _ZN2at6native12_GLOBAL__N_143conv_depthwise3d_cuda_backward_input_kernelIddLin1ELin1ELin1ELin1ELin1ELin1ELin1ELin1ELin1EEEvN5torch10headeronly6detail27GenericPackedTensorAccessorINS5_14TensorAccessorIN3c108ArrayRefIlEEKT_Lm4ENS4_16DefaultPtrTraitsEiEENS_6detail16IndexBoundsCheckILm5EiEESC_Lm5ESD_iEENS6_INS7_ISA_SB_Lm4ESD_iEESH_SB_Lm5ESD_iEESI_iiiiiiiii
		.amdhsa_group_segment_fixed_size 0
		.amdhsa_private_segment_fixed_size 0
		.amdhsa_kernarg_size 440
		.amdhsa_user_sgpr_count 6
		.amdhsa_user_sgpr_private_segment_buffer 1
		.amdhsa_user_sgpr_dispatch_ptr 0
		.amdhsa_user_sgpr_queue_ptr 0
		.amdhsa_user_sgpr_kernarg_segment_ptr 1
		.amdhsa_user_sgpr_dispatch_id 0
		.amdhsa_user_sgpr_flat_scratch_init 0
		.amdhsa_user_sgpr_kernarg_preload_length 0
		.amdhsa_user_sgpr_kernarg_preload_offset 0
		.amdhsa_user_sgpr_private_segment_size 0
		.amdhsa_uses_dynamic_stack 0
		.amdhsa_system_sgpr_private_segment_wavefront_offset 0
		.amdhsa_system_sgpr_workgroup_id_x 1
		.amdhsa_system_sgpr_workgroup_id_y 0
		.amdhsa_system_sgpr_workgroup_id_z 0
		.amdhsa_system_sgpr_workgroup_info 0
		.amdhsa_system_vgpr_workitem_id 0
		.amdhsa_next_free_vgpr 36
		.amdhsa_next_free_sgpr 82
		.amdhsa_accum_offset 36
		.amdhsa_reserve_vcc 1
		.amdhsa_reserve_flat_scratch 0
		.amdhsa_float_round_mode_32 0
		.amdhsa_float_round_mode_16_64 0
		.amdhsa_float_denorm_mode_32 3
		.amdhsa_float_denorm_mode_16_64 3
		.amdhsa_dx10_clamp 1
		.amdhsa_ieee_mode 1
		.amdhsa_fp16_overflow 0
		.amdhsa_tg_split 0
		.amdhsa_exception_fp_ieee_invalid_op 0
		.amdhsa_exception_fp_denorm_src 0
		.amdhsa_exception_fp_ieee_div_zero 0
		.amdhsa_exception_fp_ieee_overflow 0
		.amdhsa_exception_fp_ieee_underflow 0
		.amdhsa_exception_fp_ieee_inexact 0
		.amdhsa_exception_int_div_zero 0
	.end_amdhsa_kernel
	.section	.text._ZN2at6native12_GLOBAL__N_143conv_depthwise3d_cuda_backward_input_kernelIddLin1ELin1ELin1ELin1ELin1ELin1ELin1ELin1ELin1EEEvN5torch10headeronly6detail27GenericPackedTensorAccessorINS5_14TensorAccessorIN3c108ArrayRefIlEEKT_Lm4ENS4_16DefaultPtrTraitsEiEENS_6detail16IndexBoundsCheckILm5EiEESC_Lm5ESD_iEENS6_INS7_ISA_SB_Lm4ESD_iEESH_SB_Lm5ESD_iEESI_iiiiiiiii,"axG",@progbits,_ZN2at6native12_GLOBAL__N_143conv_depthwise3d_cuda_backward_input_kernelIddLin1ELin1ELin1ELin1ELin1ELin1ELin1ELin1ELin1EEEvN5torch10headeronly6detail27GenericPackedTensorAccessorINS5_14TensorAccessorIN3c108ArrayRefIlEEKT_Lm4ENS4_16DefaultPtrTraitsEiEENS_6detail16IndexBoundsCheckILm5EiEESC_Lm5ESD_iEENS6_INS7_ISA_SB_Lm4ESD_iEESH_SB_Lm5ESD_iEESI_iiiiiiiii,comdat
.Lfunc_end16:
	.size	_ZN2at6native12_GLOBAL__N_143conv_depthwise3d_cuda_backward_input_kernelIddLin1ELin1ELin1ELin1ELin1ELin1ELin1ELin1ELin1EEEvN5torch10headeronly6detail27GenericPackedTensorAccessorINS5_14TensorAccessorIN3c108ArrayRefIlEEKT_Lm4ENS4_16DefaultPtrTraitsEiEENS_6detail16IndexBoundsCheckILm5EiEESC_Lm5ESD_iEENS6_INS7_ISA_SB_Lm4ESD_iEESH_SB_Lm5ESD_iEESI_iiiiiiiii, .Lfunc_end16-_ZN2at6native12_GLOBAL__N_143conv_depthwise3d_cuda_backward_input_kernelIddLin1ELin1ELin1ELin1ELin1ELin1ELin1ELin1ELin1EEEvN5torch10headeronly6detail27GenericPackedTensorAccessorINS5_14TensorAccessorIN3c108ArrayRefIlEEKT_Lm4ENS4_16DefaultPtrTraitsEiEENS_6detail16IndexBoundsCheckILm5EiEESC_Lm5ESD_iEENS6_INS7_ISA_SB_Lm4ESD_iEESH_SB_Lm5ESD_iEESI_iiiiiiiii
                                        ; -- End function
	.section	.AMDGPU.csdata,"",@progbits
; Kernel info:
; codeLenInByte = 2004
; NumSgprs: 86
; NumVgprs: 36
; NumAgprs: 0
; TotalNumVgprs: 36
; ScratchSize: 0
; MemoryBound: 0
; FloatMode: 240
; IeeeMode: 1
; LDSByteSize: 0 bytes/workgroup (compile time only)
; SGPRBlocks: 10
; VGPRBlocks: 4
; NumSGPRsForWavesPerEU: 86
; NumVGPRsForWavesPerEU: 36
; AccumOffset: 36
; Occupancy: 8
; WaveLimiterHint : 0
; COMPUTE_PGM_RSRC2:SCRATCH_EN: 0
; COMPUTE_PGM_RSRC2:USER_SGPR: 6
; COMPUTE_PGM_RSRC2:TRAP_HANDLER: 0
; COMPUTE_PGM_RSRC2:TGID_X_EN: 1
; COMPUTE_PGM_RSRC2:TGID_Y_EN: 0
; COMPUTE_PGM_RSRC2:TGID_Z_EN: 0
; COMPUTE_PGM_RSRC2:TIDIG_COMP_CNT: 0
; COMPUTE_PGM_RSRC3_GFX90A:ACCUM_OFFSET: 8
; COMPUTE_PGM_RSRC3_GFX90A:TG_SPLIT: 0
	.section	.text._ZN2at6native12_GLOBAL__N_143conv_depthwise3d_cuda_backward_input_kernelIffLi3ELi3ELi3ELi1ELi1ELi1ELi1ELi1ELi1EEEvN5torch10headeronly6detail27GenericPackedTensorAccessorINS5_14TensorAccessorIN3c108ArrayRefIlEEKT_Lm4ENS4_16DefaultPtrTraitsEiEENS_6detail16IndexBoundsCheckILm5EiEESC_Lm5ESD_iEENS6_INS7_ISA_SB_Lm4ESD_iEESH_SB_Lm5ESD_iEESI_iiiiiiiii,"axG",@progbits,_ZN2at6native12_GLOBAL__N_143conv_depthwise3d_cuda_backward_input_kernelIffLi3ELi3ELi3ELi1ELi1ELi1ELi1ELi1ELi1EEEvN5torch10headeronly6detail27GenericPackedTensorAccessorINS5_14TensorAccessorIN3c108ArrayRefIlEEKT_Lm4ENS4_16DefaultPtrTraitsEiEENS_6detail16IndexBoundsCheckILm5EiEESC_Lm5ESD_iEENS6_INS7_ISA_SB_Lm4ESD_iEESH_SB_Lm5ESD_iEESI_iiiiiiiii,comdat
	.globl	_ZN2at6native12_GLOBAL__N_143conv_depthwise3d_cuda_backward_input_kernelIffLi3ELi3ELi3ELi1ELi1ELi1ELi1ELi1ELi1EEEvN5torch10headeronly6detail27GenericPackedTensorAccessorINS5_14TensorAccessorIN3c108ArrayRefIlEEKT_Lm4ENS4_16DefaultPtrTraitsEiEENS_6detail16IndexBoundsCheckILm5EiEESC_Lm5ESD_iEENS6_INS7_ISA_SB_Lm4ESD_iEESH_SB_Lm5ESD_iEESI_iiiiiiiii ; -- Begin function _ZN2at6native12_GLOBAL__N_143conv_depthwise3d_cuda_backward_input_kernelIffLi3ELi3ELi3ELi1ELi1ELi1ELi1ELi1ELi1EEEvN5torch10headeronly6detail27GenericPackedTensorAccessorINS5_14TensorAccessorIN3c108ArrayRefIlEEKT_Lm4ENS4_16DefaultPtrTraitsEiEENS_6detail16IndexBoundsCheckILm5EiEESC_Lm5ESD_iEENS6_INS7_ISA_SB_Lm4ESD_iEESH_SB_Lm5ESD_iEESI_iiiiiiiii
	.p2align	8
	.type	_ZN2at6native12_GLOBAL__N_143conv_depthwise3d_cuda_backward_input_kernelIffLi3ELi3ELi3ELi1ELi1ELi1ELi1ELi1ELi1EEEvN5torch10headeronly6detail27GenericPackedTensorAccessorINS5_14TensorAccessorIN3c108ArrayRefIlEEKT_Lm4ENS4_16DefaultPtrTraitsEiEENS_6detail16IndexBoundsCheckILm5EiEESC_Lm5ESD_iEENS6_INS7_ISA_SB_Lm4ESD_iEESH_SB_Lm5ESD_iEESI_iiiiiiiii,@function
_ZN2at6native12_GLOBAL__N_143conv_depthwise3d_cuda_backward_input_kernelIffLi3ELi3ELi3ELi1ELi1ELi1ELi1ELi1ELi1EEEvN5torch10headeronly6detail27GenericPackedTensorAccessorINS5_14TensorAccessorIN3c108ArrayRefIlEEKT_Lm4ENS4_16DefaultPtrTraitsEiEENS_6detail16IndexBoundsCheckILm5EiEESC_Lm5ESD_iEENS6_INS7_ISA_SB_Lm4ESD_iEESH_SB_Lm5ESD_iEESI_iiiiiiiii: ; @_ZN2at6native12_GLOBAL__N_143conv_depthwise3d_cuda_backward_input_kernelIffLi3ELi3ELi3ELi1ELi1ELi1ELi1ELi1ELi1EEEvN5torch10headeronly6detail27GenericPackedTensorAccessorINS5_14TensorAccessorIN3c108ArrayRefIlEEKT_Lm4ENS4_16DefaultPtrTraitsEiEENS_6detail16IndexBoundsCheckILm5EiEESC_Lm5ESD_iEENS6_INS7_ISA_SB_Lm4ESD_iEESH_SB_Lm5ESD_iEESI_iiiiiiiii
; %bb.0:
	s_load_dwordx4 s[16:19], s[4:5], 0x38
	s_load_dwordx2 s[14:15], s[4:5], 0x48
	s_mov_b64 s[98:99], s[2:3]
	s_mov_b64 s[96:97], s[0:1]
	s_add_u32 s96, s96, s7
	s_addc_u32 s97, s97, 0
	s_waitcnt lgkmcnt(0)
	s_abs_i32 s33, s17
	v_cvt_f32_u32_e32 v2, s33
	s_load_dword s2, s[4:5], 0xc4
	s_add_u32 s0, s4, 0xb8
	v_mov_b32_e32 v1, 0
	v_rcp_iflag_f32_e32 v2, v2
	v_mov_b32_e32 v3, s6
	s_mul_i32 s34, s15, s16
	s_addc_u32 s1, s5, 0
	v_mul_f32_e32 v2, 0x4f7ffffe, v2
	v_cvt_u32_f32_e32 v2, v2
	s_waitcnt lgkmcnt(0)
	s_and_b32 s2, s2, 0xffff
	s_ashr_i32 s35, s34, 31
	v_mad_u64_u32 v[0:1], s[6:7], s2, v3, v[0:1]
	v_readfirstlane_b32 s3, v2
	v_cmp_gt_i64_e32 vcc, s[34:35], v[0:1]
	s_and_saveexec_b64 s[6:7], vcc
	s_cbranch_execz .LBB17_60
; %bb.1:
	s_load_dwordx4 s[20:23], s[4:5], 0xc
	s_load_dwordx2 s[6:7], s[4:5], 0x0
	s_sub_i32 s8, 0, s33
                                        ; implicit-def: $vgpr127 : SGPR spill to VGPR lane
	s_mul_i32 s9, s8, s3
	s_mul_hi_u32 s9, s3, s9
	s_add_i32 s3, s3, s9
	s_waitcnt lgkmcnt(0)
	v_writelane_b32 v127, s6, 0
	v_writelane_b32 v127, s7, 1
	s_abs_i32 s7, s20
	s_mul_hi_u32 s3, s7, s3
	s_mul_i32 s9, s3, s33
	s_ashr_i32 s16, s17, 31
	s_ashr_i32 s6, s20, 31
	s_sub_i32 s7, s7, s9
	s_xor_b32 s6, s6, s16
	s_add_i32 s9, s3, 1
	s_sub_i32 s10, s7, s33
	s_cmp_ge_u32 s7, s33
	s_cselect_b32 s3, s9, s3
	s_cselect_b32 s7, s10, s7
	s_add_i32 s9, s3, 1
	s_cmp_ge_u32 s7, s33
	s_cselect_b32 s3, s9, s3
	s_abs_i32 s93, s14
	v_cvt_f32_u32_e32 v3, s93
	s_load_dword s0, s[0:1], 0x0
	s_abs_i32 s27, s19
	v_cvt_f32_u32_e32 v4, s27
	v_rcp_iflag_f32_e32 v3, v3
	s_abs_i32 s92, s18
	s_waitcnt lgkmcnt(0)
	s_mul_i32 s94, s0, s2
	s_sub_i32 s0, 0, s93
	v_mul_f32_e32 v3, 0x4f7ffffe, v3
	v_cvt_u32_f32_e32 v3, v3
	s_load_dwordx2 s[38:39], s[4:5], 0x1c
	s_load_dwordx2 s[40:41], s[4:5], 0x30
	v_rcp_iflag_f32_e32 v4, v4
	s_load_dwordx4 s[28:31], s[4:5], 0x9c
	s_load_dword s1, s[4:5], 0x7c
	v_mul_lo_u32 v5, s0, v3
	v_mul_hi_u32 v5, v3, v5
	v_add_u32_e32 v3, v3, v5
	buffer_store_dword v3, off, s[96:99], 0 ; 4-byte Folded Spill
	v_cvt_f32_u32_e32 v3, s92
	v_mul_f32_e32 v4, 0x4f7ffffe, v4
	v_cvt_u32_f32_e32 v4, v4
	s_sub_i32 s0, 0, s27
	v_rcp_iflag_f32_e32 v3, v3
	s_xor_b32 s3, s3, s6
	s_waitcnt lgkmcnt(0)
	v_writelane_b32 v127, s28, 2
	v_mul_lo_u32 v5, s0, v4
	v_mul_f32_e32 v3, 0x4f7ffffe, v3
	v_cvt_u32_f32_e32 v3, v3
	s_sub_i32 s20, s3, s6
	v_writelane_b32 v127, s29, 3
	s_load_dwordx2 s[6:7], s[4:5], 0x60
	v_mul_hi_u32 v5, v4, v5
	v_writelane_b32 v127, s30, 4
	v_add_u32_e32 v4, v4, v5
	s_sub_i32 s0, 0, s92
	v_writelane_b32 v127, s31, 5
	s_load_dwordx4 s[28:31], s[4:5], 0x50
	buffer_store_dword v4, off, s[96:99], 0 offset:4 ; 4-byte Folded Spill
	v_mul_lo_u32 v4, s0, v3
	v_mul_hi_u32 v4, v3, v4
	v_writelane_b32 v127, s1, 6
	v_add_u32_e32 v62, v3, v4
	v_mul_lo_u32 v3, s8, v2
	s_waitcnt lgkmcnt(0)
	v_writelane_b32 v127, s6, 7
	v_mul_hi_u32 v3, v2, v3
	s_mov_b32 s26, 0
	v_writelane_b32 v127, s7, 8
	s_ashr_i32 s95, s14, 31
	s_ashr_i32 s36, s19, 31
	;; [unrolled: 1-line block ×3, first 2 shown]
	v_add_u32_e32 v63, v2, v3
	s_mov_b64 s[44:45], 0
                                        ; kill: killed $sgpr4 killed $sgpr5
	s_branch .LBB17_3
.LBB17_2:                               ;   in Loop: Header=BB17_3 Depth=1
	s_or_b64 exec, exec, s[46:47]
	v_mul_lo_u32 v2, v68, s15
	v_ashrrev_i32_e32 v3, 31, v2
	v_lshlrev_b64 v[2:3], 2, v[2:3]
	v_mov_b32_e32 v4, s41
	v_add_co_u32_e32 v5, vcc, s40, v2
	v_mul_lo_u32 v2, s28, v67
	v_addc_co_u32_e32 v4, vcc, v4, v3, vcc
	v_ashrrev_i32_e32 v3, 31, v2
	v_lshlrev_b64 v[2:3], 2, v[2:3]
	v_add_co_u32_e32 v5, vcc, v5, v2
	v_mul_lo_u32 v2, s29, v66
	v_addc_co_u32_e32 v4, vcc, v4, v3, vcc
	v_ashrrev_i32_e32 v3, 31, v2
	v_lshlrev_b64 v[2:3], 2, v[2:3]
	;; [unrolled: 5-line block ×4, first 2 shown]
	v_add_co_u32_e32 v2, vcc, v5, v2
	v_addc_co_u32_e32 v3, vcc, v4, v3, vcc
	v_mov_b32_e32 v4, s26
	v_add_co_u32_e32 v0, vcc, s94, v0
	v_addc_co_u32_e32 v1, vcc, v1, v4, vcc
	v_cmp_le_i64_e32 vcc, s[34:35], v[0:1]
	s_or_b64 s[44:45], vcc, s[44:45]
	global_store_dword v[2:3], v71, off
	s_andn2_b64 exec, exec, s[44:45]
	s_cbranch_execz .LBB17_60
.LBB17_3:                               ; =>This Loop Header: Depth=1
                                        ;     Child Loop BB17_6 Depth 2
	buffer_load_dword v4, off, s[96:99], 0  ; 4-byte Folded Reload
	v_sub_u32_e32 v3, 0, v0
	v_max_i32_e32 v3, v0, v3
	v_ashrrev_i32_e32 v2, 31, v0
	v_xor_b32_e32 v2, s95, v2
	v_mov_b32_e32 v71, 0
	s_waitcnt vmcnt(0)
	v_mul_hi_u32 v4, v3, v4
	v_mul_lo_u32 v5, v4, s93
	v_sub_u32_e32 v3, v3, v5
	v_add_u32_e32 v5, 1, v4
	v_cmp_le_u32_e32 vcc, s93, v3
	v_cndmask_b32_e32 v4, v4, v5, vcc
	v_subrev_u32_e32 v5, s93, v3
	v_cndmask_b32_e32 v3, v3, v5, vcc
	v_add_u32_e32 v5, 1, v4
	v_cmp_le_u32_e32 vcc, s93, v3
	v_cndmask_b32_e32 v3, v4, v5, vcc
	buffer_load_dword v5, off, s[96:99], 0 offset:4 ; 4-byte Folded Reload
	v_xor_b32_e32 v3, v3, v2
	v_sub_u32_e32 v2, v3, v2
	v_sub_u32_e32 v4, 0, v2
	v_max_i32_e32 v4, v2, v4
	v_mul_lo_u32 v3, v2, s14
	v_sub_u32_e32 v64, v0, v3
	v_ashrrev_i32_e32 v3, 31, v2
	v_xor_b32_e32 v3, s36, v3
	s_waitcnt vmcnt(0)
	v_mul_hi_u32 v5, v4, v5
	v_mul_lo_u32 v6, v5, s27
	v_sub_u32_e32 v4, v4, v6
	v_add_u32_e32 v6, 1, v5
	v_cmp_le_u32_e32 vcc, s27, v4
	v_cndmask_b32_e32 v5, v5, v6, vcc
	v_subrev_u32_e32 v6, s27, v4
	v_cndmask_b32_e32 v4, v4, v6, vcc
	v_add_u32_e32 v6, 1, v5
	v_cmp_le_u32_e32 vcc, s27, v4
	v_cndmask_b32_e32 v4, v5, v6, vcc
	v_xor_b32_e32 v4, v4, v3
	v_sub_u32_e32 v3, v4, v3
	v_mul_lo_u32 v4, v3, s19
	v_sub_u32_e32 v65, v2, v4
	v_sub_u32_e32 v4, 0, v3
	v_max_i32_e32 v4, v3, v4
	v_mul_hi_u32 v5, v4, v62
	v_mul_lo_u32 v6, v5, s92
	v_sub_u32_e32 v4, v4, v6
	v_add_u32_e32 v6, 1, v5
	v_cmp_le_u32_e32 vcc, s92, v4
	v_cndmask_b32_e32 v5, v5, v6, vcc
	v_subrev_u32_e32 v6, s92, v4
	v_cndmask_b32_e32 v4, v4, v6, vcc
	v_ashrrev_i32_e32 v2, 31, v3
	v_add_u32_e32 v6, 1, v5
	v_cmp_le_u32_e32 vcc, s92, v4
	v_xor_b32_e32 v2, s37, v2
	v_cndmask_b32_e32 v4, v5, v6, vcc
	v_xor_b32_e32 v4, v4, v2
	v_sub_u32_e32 v2, v4, v2
	v_mul_lo_u32 v4, v2, s18
	v_sub_u32_e32 v66, v3, v4
	v_sub_u32_e32 v4, 0, v2
	v_max_i32_e32 v4, v2, v4
	v_mul_hi_u32 v5, v4, v63
	v_mul_lo_u32 v6, v5, s33
	v_sub_u32_e32 v4, v4, v6
	v_add_u32_e32 v6, 1, v5
	v_cmp_le_u32_e32 vcc, s33, v4
	v_cndmask_b32_e32 v5, v5, v6, vcc
	v_subrev_u32_e32 v6, s33, v4
	v_cndmask_b32_e32 v4, v4, v6, vcc
	v_ashrrev_i32_e32 v3, 31, v2
	v_add_u32_e32 v6, 1, v5
	v_cmp_le_u32_e32 vcc, s33, v4
	v_xor_b32_e32 v3, s16, v3
	v_cndmask_b32_e32 v4, v5, v6, vcc
	v_xor_b32_e32 v4, v4, v3
	v_sub_u32_e32 v68, v4, v3
	v_mul_lo_u32 v3, v68, s17
	v_sub_u32_e32 v67, v2, v3
	v_mul_lo_u32 v2, v67, s20
	v_add_u32_e32 v3, s20, v2
	v_cmp_lt_i32_e32 vcc, v2, v3
	s_and_saveexec_b64 s[46:47], vcc
	s_cbranch_execz .LBB17_2
; %bb.4:                                ;   in Loop: Header=BB17_3 Depth=1
	v_readlane_b32 s0, v127, 2
	v_add_u32_e32 v13, s0, v66
	v_readlane_b32 s0, v127, 6
	v_readlane_b32 s1, v127, 3
	v_mul_lo_u32 v2, s0, v2
	v_add_u32_e32 v5, s1, v65
	v_ashrrev_i32_e32 v3, 31, v2
	v_readlane_b32 s0, v127, 7
	v_lshlrev_b64 v[2:3], 2, v[2:3]
	v_readlane_b32 s1, v127, 8
	v_mul_lo_u32 v6, s38, v68
	v_mov_b32_e32 v4, s1
	v_add_co_u32_e32 v2, vcc, s0, v2
	v_ashrrev_i32_e32 v7, 31, v6
	v_readlane_b32 s0, v127, 0
	v_addc_co_u32_e32 v3, vcc, v4, v3, vcc
	v_lshlrev_b64 v[6:7], 2, v[6:7]
	v_readlane_b32 s1, v127, 1
	v_readlane_b32 s2, v127, 4
	v_mov_b32_e32 v4, s1
	v_add_co_u32_e32 v69, vcc, s0, v6
	v_mul_lo_u32 v15, v13, s22
	v_add_u32_e32 v40, s2, v64
	v_addc_co_u32_e32 v70, vcc, v4, v7, vcc
	v_add_u32_e32 v4, v5, v15
	v_mul_lo_u32 v8, v4, s23
	v_or_b32_e32 v4, v40, v5
	v_add_u32_e32 v11, -2, v13
	v_add_u32_e32 v19, -1, v13
	v_or_b32_e32 v17, v4, v11
	v_or_b32_e32 v21, v4, v19
	;; [unrolled: 1-line block ×3, first 2 shown]
	v_add_u32_e32 v41, -1, v40
	v_readlane_b32 s3, v127, 5
	v_cmp_lt_i32_e32 vcc, -1, v4
	v_cmp_gt_i32_e64 s[0:1], s23, v40
	v_or_b32_e32 v6, v41, v5
	v_cmp_gt_i32_e64 s[8:9], s22, v5
	s_and_b64 s[2:3], s[0:1], vcc
	v_or_b32_e32 v23, v6, v11
	v_or_b32_e32 v24, v6, v19
	;; [unrolled: 1-line block ×3, first 2 shown]
	v_cmp_gt_i32_e64 s[10:11], s21, v13
	s_and_b64 s[2:3], s[2:3], s[8:9]
	v_cmp_lt_i32_e32 vcc, -1, v6
	v_cmp_gt_i32_e64 s[4:5], s23, v41
	v_add_u32_e32 v42, -2, v40
	s_and_b64 s[48:49], s[2:3], s[10:11]
	s_and_b64 s[2:3], s[4:5], vcc
	v_or_b32_e32 v22, v42, v5
	s_and_b64 s[2:3], s[2:3], s[8:9]
	v_or_b32_e32 v25, v22, v11
	v_or_b32_e32 v26, v22, v19
	;; [unrolled: 1-line block ×3, first 2 shown]
	v_add_u32_e32 v9, -1, v5
	s_and_b64 s[50:51], s[2:3], s[10:11]
	v_cmp_lt_i32_e64 s[2:3], -1, v22
	v_cmp_gt_i32_e32 vcc, s23, v42
	v_or_b32_e32 v10, v40, v9
	s_and_b64 s[2:3], vcc, s[2:3]
	s_and_b64 s[2:3], s[2:3], s[8:9]
	v_or_b32_e32 v27, v10, v11
	v_or_b32_e32 v28, v10, v19
	;; [unrolled: 1-line block ×3, first 2 shown]
	s_and_b64 s[52:53], s[2:3], s[10:11]
	v_cmp_lt_i32_e64 s[2:3], -1, v10
	v_or_b32_e32 v12, v41, v9
	v_cmp_gt_i32_e64 s[6:7], s22, v9
	s_and_b64 s[2:3], s[0:1], s[2:3]
	s_and_b64 s[2:3], s[2:3], s[6:7]
	v_or_b32_e32 v29, v12, v11
	v_or_b32_e32 v30, v12, v19
	;; [unrolled: 1-line block ×3, first 2 shown]
	s_and_b64 s[54:55], s[2:3], s[10:11]
	v_cmp_lt_i32_e64 s[2:3], -1, v12
	v_or_b32_e32 v14, v42, v9
	s_and_b64 s[2:3], s[4:5], s[2:3]
	v_add_u32_e32 v7, -2, v5
	s_and_b64 s[2:3], s[2:3], s[6:7]
	v_or_b32_e32 v31, v14, v11
	v_or_b32_e32 v32, v14, v19
	;; [unrolled: 1-line block ×4, first 2 shown]
	s_and_b64 s[56:57], s[2:3], s[10:11]
	v_cmp_lt_i32_e64 s[2:3], -1, v14
	s_and_b64 s[2:3], vcc, s[2:3]
	v_or_b32_e32 v33, v16, v11
	v_or_b32_e32 v34, v16, v19
	;; [unrolled: 1-line block ×3, first 2 shown]
	s_and_b64 s[2:3], s[2:3], s[6:7]
	v_cmp_lt_i32_e64 s[12:13], -1, v16
	v_or_b32_e32 v18, v41, v7
	s_and_b64 s[58:59], s[2:3], s[10:11]
	v_cmp_gt_i32_e64 s[2:3], s22, v7
	s_and_b64 s[12:13], s[0:1], s[12:13]
	s_and_b64 s[12:13], s[12:13], s[2:3]
	v_or_b32_e32 v35, v18, v11
	v_or_b32_e32 v36, v18, v19
	;; [unrolled: 1-line block ×3, first 2 shown]
	s_and_b64 s[60:61], s[12:13], s[10:11]
	v_cmp_lt_i32_e64 s[12:13], -1, v18
	v_or_b32_e32 v20, v42, v7
	s_and_b64 s[12:13], s[4:5], s[12:13]
	s_and_b64 s[12:13], s[12:13], s[2:3]
	v_or_b32_e32 v13, v20, v13
	s_and_b64 s[62:63], s[12:13], s[10:11]
	v_cmp_lt_i32_e64 s[12:13], -1, v13
	s_and_b64 s[12:13], vcc, s[12:13]
	s_and_b64 s[12:13], s[12:13], s[2:3]
	s_and_b64 s[64:65], s[12:13], s[10:11]
	v_cmp_lt_i32_e64 s[12:13], -1, v21
	s_and_b64 s[82:83], s[0:1], s[8:9]
	v_cmp_gt_i32_e64 s[10:11], s21, v19
	s_and_b64 s[12:13], s[82:83], s[12:13]
	s_and_b64 s[66:67], s[12:13], s[10:11]
	v_cmp_lt_i32_e64 s[12:13], -1, v24
	s_and_b64 s[84:85], s[4:5], s[8:9]
	s_and_b64 s[12:13], s[84:85], s[12:13]
	;; [unrolled: 1-line block ×3, first 2 shown]
	v_cmp_lt_i32_e64 s[12:13], -1, v26
	s_and_b64 s[86:87], vcc, s[8:9]
	s_and_b64 s[8:9], s[86:87], s[12:13]
	s_and_b64 s[70:71], s[8:9], s[10:11]
	v_cmp_lt_i32_e64 s[8:9], -1, v28
	s_and_b64 s[8:9], s[0:1], s[8:9]
	s_and_b64 s[8:9], s[8:9], s[6:7]
	;; [unrolled: 1-line block ×3, first 2 shown]
	v_cmp_lt_i32_e64 s[8:9], -1, v30
	s_and_b64 s[8:9], s[4:5], s[8:9]
	s_and_b64 s[8:9], s[8:9], s[6:7]
	;; [unrolled: 1-line block ×3, first 2 shown]
	v_cmp_lt_i32_e64 s[8:9], -1, v32
	s_and_b64 s[8:9], vcc, s[8:9]
	s_and_b64 s[8:9], s[8:9], s[6:7]
	s_and_b64 s[76:77], s[8:9], s[10:11]
	v_cmp_lt_i32_e64 s[8:9], -1, v34
	s_and_b64 s[8:9], s[0:1], s[8:9]
	s_and_b64 s[8:9], s[8:9], s[2:3]
	;; [unrolled: 1-line block ×3, first 2 shown]
	v_cmp_lt_i32_e64 s[8:9], -1, v36
	s_and_b64 s[8:9], s[4:5], s[8:9]
	v_or_b32_e32 v38, v20, v19
	s_and_b64 s[8:9], s[8:9], s[2:3]
	s_and_b64 s[80:81], s[8:9], s[10:11]
	v_cmp_lt_i32_e64 s[8:9], -1, v38
	s_and_b64 s[8:9], vcc, s[8:9]
	s_and_b64 s[8:9], s[8:9], s[2:3]
	v_cmp_lt_i32_e64 s[12:13], -1, v17
	s_and_b64 s[10:11], s[8:9], s[10:11]
	v_cmp_lt_i32_e64 s[8:9], -1, v23
	s_and_b64 s[12:13], s[82:83], s[12:13]
	s_and_b64 s[82:83], s[84:85], s[8:9]
	v_cmp_lt_i32_e64 s[8:9], -1, v25
	s_and_b64 s[84:85], s[86:87], s[8:9]
	v_cmp_lt_i32_e64 s[8:9], -1, v27
	s_and_b64 s[8:9], s[0:1], s[8:9]
	s_and_b64 s[86:87], s[8:9], s[6:7]
	v_cmp_lt_i32_e64 s[8:9], -1, v29
	s_and_b64 s[8:9], s[4:5], s[8:9]
	s_and_b64 s[88:89], s[8:9], s[6:7]
	v_cmp_lt_i32_e64 s[8:9], -1, v31
	v_add_u32_e32 v22, v9, v15
	s_and_b64 s[8:9], vcc, s[8:9]
	v_mul_lo_u32 v22, v22, s23
	v_subrev_u32_e32 v13, s22, v15
	s_and_b64 s[90:91], s[8:9], s[6:7]
	v_cmp_lt_i32_e64 s[6:7], -1, v33
	v_add_u32_e32 v10, v40, v22
	v_add_u32_e32 v12, v41, v22
	;; [unrolled: 1-line block ×5, first 2 shown]
	s_and_b64 s[42:43], s[0:1], s[6:7]
	v_cmp_lt_i32_e64 s[0:1], -1, v35
	v_mul_lo_u32 v22, v22, s23
	v_or_b32_e32 v37, v20, v11
	v_mul_lo_u32 v15, v15, s23
	s_and_b64 s[24:25], s[4:5], s[0:1]
	v_cmp_gt_i32_e64 s[0:1], s21, v11
	v_subrev_u32_e32 v11, s22, v13
	v_add_u32_e32 v16, v40, v22
	v_add_u32_e32 v18, v41, v22
	;; [unrolled: 1-line block ×8, first 2 shown]
	v_mul_lo_u32 v15, v15, s23
	v_mul_lo_u32 v5, v5, s23
	v_add_u32_e32 v28, v40, v15
	v_add_u32_e32 v30, v41, v15
	;; [unrolled: 1-line block ×9, first 2 shown]
	v_cmp_lt_i32_e64 s[4:5], -1, v37
	v_mul_lo_u32 v15, v15, s23
	v_mul_lo_u32 v5, v5, s23
	;; [unrolled: 1-line block ×3, first 2 shown]
	s_and_b64 s[4:5], vcc, s[4:5]
	v_add_u32_e32 v4, v40, v8
	v_add_u32_e32 v6, v41, v8
	;; [unrolled: 1-line block ×9, first 2 shown]
	s_and_b64 s[42:43], s[42:43], s[2:3]
	v_add_u32_e32 v56, v40, v43
	s_and_b64 s[24:25], s[24:25], s[2:3]
	v_add_u32_e32 v58, v41, v43
	;; [unrolled: 2-line block ×3, first 2 shown]
	v_ashrrev_i32_e32 v5, 31, v4
	v_ashrrev_i32_e32 v7, 31, v6
	;; [unrolled: 1-line block ×18, first 2 shown]
	s_and_b64 s[6:7], s[12:13], s[0:1]
	v_ashrrev_i32_e32 v45, 31, v44
	s_and_b64 s[8:9], s[82:83], s[0:1]
	v_ashrrev_i32_e32 v47, 31, v46
	s_and_b64 s[12:13], s[84:85], s[0:1]
	v_ashrrev_i32_e32 v49, 31, v48
	s_and_b64 s[82:83], s[86:87], s[0:1]
	v_ashrrev_i32_e32 v51, 31, v50
	s_and_b64 s[84:85], s[88:89], s[0:1]
	v_ashrrev_i32_e32 v53, 31, v52
	s_and_b64 s[86:87], s[90:91], s[0:1]
	v_ashrrev_i32_e32 v55, 31, v54
	s_and_b64 s[88:89], s[42:43], s[0:1]
	v_ashrrev_i32_e32 v57, 31, v56
	s_and_b64 s[90:91], s[24:25], s[0:1]
	v_ashrrev_i32_e32 v59, 31, v58
	s_and_b64 s[0:1], s[2:3], s[0:1]
	v_ashrrev_i32_e32 v73, 31, v72
	s_mul_i32 s2, s39, s20
	v_lshlrev_b64 v[4:5], 2, v[4:5]
	v_lshlrev_b64 v[6:7], 2, v[6:7]
	;; [unrolled: 1-line block ×27, first 2 shown]
	s_mov_b32 s4, s20
	v_mov_b32_e32 v71, 0
	v_mul_lo_u32 v58, s2, v67
	s_branch .LBB17_6
.LBB17_5:                               ;   in Loop: Header=BB17_6 Depth=2
	s_or_b64 exec, exec, s[2:3]
	s_waitcnt vmcnt(26)
	v_fmac_f32_e32 v71, v72, v59
	s_waitcnt vmcnt(25)
	v_fmac_f32_e32 v71, v75, v77
	;; [unrolled: 2-line block ×26, first 2 shown]
	v_add_co_u32_e32 v2, vcc, 0x6c, v2
	s_add_i32 s4, s4, -1
	s_waitcnt vmcnt(0)
	v_fmac_f32_e32 v71, v126, v124
	v_addc_co_u32_e32 v3, vcc, 0, v3, vcc
	s_cmp_eq_u32 s4, 0
	v_add_u32_e32 v58, s39, v58
	s_cbranch_scc1 .LBB17_2
.LBB17_6:                               ;   Parent Loop BB17_3 Depth=1
                                        ; =>  This Inner Loop Header: Depth=2
	global_load_dword v72, v[2:3], off
	v_ashrrev_i32_e32 v59, 31, v58
	v_lshlrev_b64 v[74:75], 2, v[58:59]
	v_add_co_u32_e32 v73, vcc, v69, v74
	v_addc_co_u32_e32 v74, vcc, v70, v75, vcc
	v_mov_b32_e32 v59, 0
	s_and_saveexec_b64 s[2:3], s[48:49]
	s_cbranch_execz .LBB17_8
; %bb.7:                                ;   in Loop: Header=BB17_6 Depth=2
	v_add_co_u32_e32 v76, vcc, v73, v4
	v_addc_co_u32_e32 v77, vcc, v74, v5, vcc
	global_load_dword v59, v[76:77], off
.LBB17_8:                               ;   in Loop: Header=BB17_6 Depth=2
	s_or_b64 exec, exec, s[2:3]
	global_load_dword v75, v[2:3], off offset:4
	v_mov_b32_e32 v76, 0
	v_mov_b32_e32 v77, 0
	s_and_saveexec_b64 s[2:3], s[50:51]
	s_cbranch_execz .LBB17_10
; %bb.9:                                ;   in Loop: Header=BB17_6 Depth=2
	v_add_co_u32_e32 v78, vcc, v73, v6
	v_addc_co_u32_e32 v79, vcc, v74, v7, vcc
	global_load_dword v77, v[78:79], off
.LBB17_10:                              ;   in Loop: Header=BB17_6 Depth=2
	s_or_b64 exec, exec, s[2:3]
	global_load_dword v78, v[2:3], off offset:8
	s_and_saveexec_b64 s[2:3], s[52:53]
	s_cbranch_execz .LBB17_12
; %bb.11:                               ;   in Loop: Header=BB17_6 Depth=2
	v_add_co_u32_e32 v80, vcc, v73, v8
	v_addc_co_u32_e32 v81, vcc, v74, v9, vcc
	global_load_dword v76, v[80:81], off
.LBB17_12:                              ;   in Loop: Header=BB17_6 Depth=2
	s_or_b64 exec, exec, s[2:3]
	global_load_dword v79, v[2:3], off offset:12
	v_mov_b32_e32 v80, 0
	v_mov_b32_e32 v81, 0
	s_and_saveexec_b64 s[2:3], s[54:55]
	s_cbranch_execz .LBB17_14
; %bb.13:                               ;   in Loop: Header=BB17_6 Depth=2
	v_add_co_u32_e32 v82, vcc, v73, v10
	v_addc_co_u32_e32 v83, vcc, v74, v11, vcc
	global_load_dword v81, v[82:83], off
.LBB17_14:                              ;   in Loop: Header=BB17_6 Depth=2
	s_or_b64 exec, exec, s[2:3]
	global_load_dword v82, v[2:3], off offset:16
	s_and_saveexec_b64 s[2:3], s[56:57]
	s_cbranch_execz .LBB17_16
; %bb.15:                               ;   in Loop: Header=BB17_6 Depth=2
	v_add_co_u32_e32 v84, vcc, v73, v12
	v_addc_co_u32_e32 v85, vcc, v74, v13, vcc
	global_load_dword v80, v[84:85], off
.LBB17_16:                              ;   in Loop: Header=BB17_6 Depth=2
	s_or_b64 exec, exec, s[2:3]
	global_load_dword v83, v[2:3], off offset:20
	v_mov_b32_e32 v84, 0
	v_mov_b32_e32 v85, 0
	s_and_saveexec_b64 s[2:3], s[58:59]
	s_cbranch_execz .LBB17_18
; %bb.17:                               ;   in Loop: Header=BB17_6 Depth=2
	v_add_co_u32_e32 v86, vcc, v73, v14
	v_addc_co_u32_e32 v87, vcc, v74, v15, vcc
	global_load_dword v85, v[86:87], off
.LBB17_18:                              ;   in Loop: Header=BB17_6 Depth=2
	;; [unrolled: 20-line block ×12, first 2 shown]
	s_or_b64 exec, exec, s[2:3]
	global_load_dword v126, v[2:3], off offset:104
	s_and_saveexec_b64 s[2:3], s[0:1]
	s_cbranch_execz .LBB17_5
; %bb.59:                               ;   in Loop: Header=BB17_6 Depth=2
	v_add_co_u32_e32 v60, vcc, v73, v56
	v_addc_co_u32_e32 v61, vcc, v74, v57, vcc
	global_load_dword v124, v[60:61], off
	s_branch .LBB17_5
.LBB17_60:
	s_endpgm
	.section	.rodata,"a",@progbits
	.p2align	6, 0x0
	.amdhsa_kernel _ZN2at6native12_GLOBAL__N_143conv_depthwise3d_cuda_backward_input_kernelIffLi3ELi3ELi3ELi1ELi1ELi1ELi1ELi1ELi1EEEvN5torch10headeronly6detail27GenericPackedTensorAccessorINS5_14TensorAccessorIN3c108ArrayRefIlEEKT_Lm4ENS4_16DefaultPtrTraitsEiEENS_6detail16IndexBoundsCheckILm5EiEESC_Lm5ESD_iEENS6_INS7_ISA_SB_Lm4ESD_iEESH_SB_Lm5ESD_iEESI_iiiiiiiii
		.amdhsa_group_segment_fixed_size 0
		.amdhsa_private_segment_fixed_size 12
		.amdhsa_kernarg_size 440
		.amdhsa_user_sgpr_count 6
		.amdhsa_user_sgpr_private_segment_buffer 1
		.amdhsa_user_sgpr_dispatch_ptr 0
		.amdhsa_user_sgpr_queue_ptr 0
		.amdhsa_user_sgpr_kernarg_segment_ptr 1
		.amdhsa_user_sgpr_dispatch_id 0
		.amdhsa_user_sgpr_flat_scratch_init 0
		.amdhsa_user_sgpr_kernarg_preload_length 0
		.amdhsa_user_sgpr_kernarg_preload_offset 0
		.amdhsa_user_sgpr_private_segment_size 0
		.amdhsa_uses_dynamic_stack 0
		.amdhsa_system_sgpr_private_segment_wavefront_offset 1
		.amdhsa_system_sgpr_workgroup_id_x 1
		.amdhsa_system_sgpr_workgroup_id_y 0
		.amdhsa_system_sgpr_workgroup_id_z 0
		.amdhsa_system_sgpr_workgroup_info 0
		.amdhsa_system_vgpr_workitem_id 0
		.amdhsa_next_free_vgpr 128
		.amdhsa_next_free_sgpr 100
		.amdhsa_accum_offset 128
		.amdhsa_reserve_vcc 1
		.amdhsa_reserve_flat_scratch 0
		.amdhsa_float_round_mode_32 0
		.amdhsa_float_round_mode_16_64 0
		.amdhsa_float_denorm_mode_32 3
		.amdhsa_float_denorm_mode_16_64 3
		.amdhsa_dx10_clamp 1
		.amdhsa_ieee_mode 1
		.amdhsa_fp16_overflow 0
		.amdhsa_tg_split 0
		.amdhsa_exception_fp_ieee_invalid_op 0
		.amdhsa_exception_fp_denorm_src 0
		.amdhsa_exception_fp_ieee_div_zero 0
		.amdhsa_exception_fp_ieee_overflow 0
		.amdhsa_exception_fp_ieee_underflow 0
		.amdhsa_exception_fp_ieee_inexact 0
		.amdhsa_exception_int_div_zero 0
	.end_amdhsa_kernel
	.section	.text._ZN2at6native12_GLOBAL__N_143conv_depthwise3d_cuda_backward_input_kernelIffLi3ELi3ELi3ELi1ELi1ELi1ELi1ELi1ELi1EEEvN5torch10headeronly6detail27GenericPackedTensorAccessorINS5_14TensorAccessorIN3c108ArrayRefIlEEKT_Lm4ENS4_16DefaultPtrTraitsEiEENS_6detail16IndexBoundsCheckILm5EiEESC_Lm5ESD_iEENS6_INS7_ISA_SB_Lm4ESD_iEESH_SB_Lm5ESD_iEESI_iiiiiiiii,"axG",@progbits,_ZN2at6native12_GLOBAL__N_143conv_depthwise3d_cuda_backward_input_kernelIffLi3ELi3ELi3ELi1ELi1ELi1ELi1ELi1ELi1EEEvN5torch10headeronly6detail27GenericPackedTensorAccessorINS5_14TensorAccessorIN3c108ArrayRefIlEEKT_Lm4ENS4_16DefaultPtrTraitsEiEENS_6detail16IndexBoundsCheckILm5EiEESC_Lm5ESD_iEENS6_INS7_ISA_SB_Lm4ESD_iEESH_SB_Lm5ESD_iEESI_iiiiiiiii,comdat
.Lfunc_end17:
	.size	_ZN2at6native12_GLOBAL__N_143conv_depthwise3d_cuda_backward_input_kernelIffLi3ELi3ELi3ELi1ELi1ELi1ELi1ELi1ELi1EEEvN5torch10headeronly6detail27GenericPackedTensorAccessorINS5_14TensorAccessorIN3c108ArrayRefIlEEKT_Lm4ENS4_16DefaultPtrTraitsEiEENS_6detail16IndexBoundsCheckILm5EiEESC_Lm5ESD_iEENS6_INS7_ISA_SB_Lm4ESD_iEESH_SB_Lm5ESD_iEESI_iiiiiiiii, .Lfunc_end17-_ZN2at6native12_GLOBAL__N_143conv_depthwise3d_cuda_backward_input_kernelIffLi3ELi3ELi3ELi1ELi1ELi1ELi1ELi1ELi1EEEvN5torch10headeronly6detail27GenericPackedTensorAccessorINS5_14TensorAccessorIN3c108ArrayRefIlEEKT_Lm4ENS4_16DefaultPtrTraitsEiEENS_6detail16IndexBoundsCheckILm5EiEESC_Lm5ESD_iEENS6_INS7_ISA_SB_Lm4ESD_iEESH_SB_Lm5ESD_iEESI_iiiiiiiii
                                        ; -- End function
	.section	.AMDGPU.csdata,"",@progbits
; Kernel info:
; codeLenInByte = 4008
; NumSgprs: 104
; NumVgprs: 128
; NumAgprs: 0
; TotalNumVgprs: 128
; ScratchSize: 12
; MemoryBound: 0
; FloatMode: 240
; IeeeMode: 1
; LDSByteSize: 0 bytes/workgroup (compile time only)
; SGPRBlocks: 12
; VGPRBlocks: 15
; NumSGPRsForWavesPerEU: 104
; NumVGPRsForWavesPerEU: 128
; AccumOffset: 128
; Occupancy: 4
; WaveLimiterHint : 0
; COMPUTE_PGM_RSRC2:SCRATCH_EN: 1
; COMPUTE_PGM_RSRC2:USER_SGPR: 6
; COMPUTE_PGM_RSRC2:TRAP_HANDLER: 0
; COMPUTE_PGM_RSRC2:TGID_X_EN: 1
; COMPUTE_PGM_RSRC2:TGID_Y_EN: 0
; COMPUTE_PGM_RSRC2:TGID_Z_EN: 0
; COMPUTE_PGM_RSRC2:TIDIG_COMP_CNT: 0
; COMPUTE_PGM_RSRC3_GFX90A:ACCUM_OFFSET: 31
; COMPUTE_PGM_RSRC3_GFX90A:TG_SPLIT: 0
	.section	.text._ZN2at6native12_GLOBAL__N_143conv_depthwise3d_cuda_backward_input_kernelIffLi3ELi3ELi3ELi1ELi1ELi1ELin1ELin1ELin1EEEvN5torch10headeronly6detail27GenericPackedTensorAccessorINS5_14TensorAccessorIN3c108ArrayRefIlEEKT_Lm4ENS4_16DefaultPtrTraitsEiEENS_6detail16IndexBoundsCheckILm5EiEESC_Lm5ESD_iEENS6_INS7_ISA_SB_Lm4ESD_iEESH_SB_Lm5ESD_iEESI_iiiiiiiii,"axG",@progbits,_ZN2at6native12_GLOBAL__N_143conv_depthwise3d_cuda_backward_input_kernelIffLi3ELi3ELi3ELi1ELi1ELi1ELin1ELin1ELin1EEEvN5torch10headeronly6detail27GenericPackedTensorAccessorINS5_14TensorAccessorIN3c108ArrayRefIlEEKT_Lm4ENS4_16DefaultPtrTraitsEiEENS_6detail16IndexBoundsCheckILm5EiEESC_Lm5ESD_iEENS6_INS7_ISA_SB_Lm4ESD_iEESH_SB_Lm5ESD_iEESI_iiiiiiiii,comdat
	.globl	_ZN2at6native12_GLOBAL__N_143conv_depthwise3d_cuda_backward_input_kernelIffLi3ELi3ELi3ELi1ELi1ELi1ELin1ELin1ELin1EEEvN5torch10headeronly6detail27GenericPackedTensorAccessorINS5_14TensorAccessorIN3c108ArrayRefIlEEKT_Lm4ENS4_16DefaultPtrTraitsEiEENS_6detail16IndexBoundsCheckILm5EiEESC_Lm5ESD_iEENS6_INS7_ISA_SB_Lm4ESD_iEESH_SB_Lm5ESD_iEESI_iiiiiiiii ; -- Begin function _ZN2at6native12_GLOBAL__N_143conv_depthwise3d_cuda_backward_input_kernelIffLi3ELi3ELi3ELi1ELi1ELi1ELin1ELin1ELin1EEEvN5torch10headeronly6detail27GenericPackedTensorAccessorINS5_14TensorAccessorIN3c108ArrayRefIlEEKT_Lm4ENS4_16DefaultPtrTraitsEiEENS_6detail16IndexBoundsCheckILm5EiEESC_Lm5ESD_iEENS6_INS7_ISA_SB_Lm4ESD_iEESH_SB_Lm5ESD_iEESI_iiiiiiiii
	.p2align	8
	.type	_ZN2at6native12_GLOBAL__N_143conv_depthwise3d_cuda_backward_input_kernelIffLi3ELi3ELi3ELi1ELi1ELi1ELin1ELin1ELin1EEEvN5torch10headeronly6detail27GenericPackedTensorAccessorINS5_14TensorAccessorIN3c108ArrayRefIlEEKT_Lm4ENS4_16DefaultPtrTraitsEiEENS_6detail16IndexBoundsCheckILm5EiEESC_Lm5ESD_iEENS6_INS7_ISA_SB_Lm4ESD_iEESH_SB_Lm5ESD_iEESI_iiiiiiiii,@function
_ZN2at6native12_GLOBAL__N_143conv_depthwise3d_cuda_backward_input_kernelIffLi3ELi3ELi3ELi1ELi1ELi1ELin1ELin1ELin1EEEvN5torch10headeronly6detail27GenericPackedTensorAccessorINS5_14TensorAccessorIN3c108ArrayRefIlEEKT_Lm4ENS4_16DefaultPtrTraitsEiEENS_6detail16IndexBoundsCheckILm5EiEESC_Lm5ESD_iEENS6_INS7_ISA_SB_Lm4ESD_iEESH_SB_Lm5ESD_iEESI_iiiiiiiii: ; @_ZN2at6native12_GLOBAL__N_143conv_depthwise3d_cuda_backward_input_kernelIffLi3ELi3ELi3ELi1ELi1ELi1ELin1ELin1ELin1EEEvN5torch10headeronly6detail27GenericPackedTensorAccessorINS5_14TensorAccessorIN3c108ArrayRefIlEEKT_Lm4ENS4_16DefaultPtrTraitsEiEENS_6detail16IndexBoundsCheckILm5EiEESC_Lm5ESD_iEENS6_INS7_ISA_SB_Lm4ESD_iEESH_SB_Lm5ESD_iEESI_iiiiiiiii
; %bb.0:
	s_load_dwordx4 s[8:11], s[4:5], 0x38
	s_load_dwordx2 s[16:17], s[4:5], 0x48
	s_mov_b64 s[98:99], s[2:3]
	s_mov_b64 s[96:97], s[0:1]
	s_add_u32 s96, s96, s7
	s_addc_u32 s97, s97, 0
	s_waitcnt lgkmcnt(0)
	s_abs_i32 s0, s9
	v_cvt_f32_u32_e32 v2, s0
                                        ; implicit-def: $vgpr126 : SGPR spill to VGPR lane
	s_load_dword s2, s[4:5], 0xc4
	v_writelane_b32 v126, s0, 0
	v_writelane_b32 v126, s8, 1
	v_rcp_iflag_f32_e32 v2, v2
	v_writelane_b32 v126, s9, 2
	v_writelane_b32 v126, s10, 3
	v_writelane_b32 v126, s11, 4
	v_mul_f32_e32 v2, 0x4f7ffffe, v2
	v_cvt_u32_f32_e32 v2, v2
	s_mul_i32 s8, s17, s8
	s_add_u32 s0, s4, 0xb8
	v_mov_b32_e32 v1, 0
	v_mov_b32_e32 v3, s6
	s_addc_u32 s1, s5, 0
	s_waitcnt lgkmcnt(0)
	s_and_b32 s2, s2, 0xffff
	s_ashr_i32 s9, s8, 31
	v_mad_u64_u32 v[0:1], s[6:7], s2, v3, v[0:1]
	v_writelane_b32 v126, s8, 5
	v_readfirstlane_b32 s3, v2
	v_writelane_b32 v126, s9, 6
	v_cmp_gt_i64_e32 vcc, s[8:9], v[0:1]
	s_and_saveexec_b64 s[6:7], vcc
	s_cbranch_execz .LBB18_60
; %bb.1:
	s_load_dwordx2 s[6:7], s[4:5], 0x0
	s_load_dwordx4 s[24:27], s[4:5], 0x50
	s_load_dwordx4 s[8:11], s[4:5], 0xc
	;; [unrolled: 1-line block ×3, first 2 shown]
	s_mov_b32 s57, 0
	s_load_dword s0, s[0:1], 0x0
	s_waitcnt lgkmcnt(0)
	v_writelane_b32 v126, s6, 7
	v_writelane_b32 v126, s7, 8
	s_ashr_i32 s6, s8, 31
	v_writelane_b32 v126, s8, 9
	v_writelane_b32 v126, s9, 10
	;; [unrolled: 1-line block ×4, first 2 shown]
	v_readlane_b32 s11, v126, 0
	s_abs_i32 s7, s8
	s_sub_i32 s8, 0, s11
	s_mul_i32 s9, s8, s3
	s_mul_hi_u32 s9, s3, s9
	s_add_i32 s3, s3, s9
	s_mul_hi_u32 s3, s7, s3
	s_mul_i32 s9, s3, s11
	s_ashr_i32 s56, s13, 31
	s_sub_i32 s7, s7, s9
	s_xor_b32 s6, s6, s56
	s_add_i32 s9, s3, 1
	s_sub_i32 s10, s7, s11
	s_cmp_ge_u32 s7, s11
	s_cselect_b32 s3, s9, s3
	s_cselect_b32 s7, s10, s7
	s_add_i32 s9, s3, 1
	s_load_dwordx2 s[12:13], s[4:5], 0xa0
	s_cmp_ge_u32 s7, s11
	s_cselect_b32 s3, s9, s3
	s_xor_b32 s3, s3, s6
	s_load_dwordx4 s[20:23], s[4:5], 0x90
	s_load_dword s1, s[4:5], 0x7c
	s_sub_i32 s58, s3, s6
	s_load_dwordx2 s[6:7], s[4:5], 0x1c
	s_load_dwordx2 s[10:11], s[4:5], 0x30
	s_waitcnt lgkmcnt(0)
	v_writelane_b32 v126, s12, 13
	v_writelane_b32 v126, s13, 14
	;; [unrolled: 1-line block ×3, first 2 shown]
	s_abs_i32 s59, s16
	v_writelane_b32 v126, s10, 16
	v_cvt_f32_u32_e32 v3, s59
	v_writelane_b32 v126, s11, 17
	s_load_dwordx2 s[10:11], s[4:5], 0x60
	s_mul_i32 s0, s0, s2
	v_rcp_iflag_f32_e32 v3, v3
	s_abs_i32 s1, s15
	v_cvt_f32_u32_e32 v4, s1
	s_waitcnt lgkmcnt(0)
	v_writelane_b32 v126, s10, 18
	v_writelane_b32 v126, s11, 19
	;; [unrolled: 1-line block ×4, first 2 shown]
	v_mul_f32_e32 v3, 0x4f7ffffe, v3
	v_writelane_b32 v126, s26, 22
	v_cvt_u32_f32_e32 v3, v3
	v_writelane_b32 v126, s27, 23
	v_writelane_b32 v126, s0, 24
	s_ashr_i32 s0, s16, 31
	v_writelane_b32 v126, s0, 25
	s_sub_i32 s0, 0, s59
	v_mul_lo_u32 v5, s0, v3
	v_mul_hi_u32 v5, v3, v5
	v_add_u32_e32 v3, v3, v5
	s_abs_i32 s2, s14
	buffer_store_dword v3, off, s[96:99], 0 ; 4-byte Folded Spill
	v_cvt_f32_u32_e32 v3, s2
	v_rcp_iflag_f32_e32 v4, v4
	s_ashr_i32 s0, s15, 31
	v_writelane_b32 v126, s0, 26
	v_rcp_iflag_f32_e32 v3, v3
	v_mul_f32_e32 v4, 0x4f7ffffe, v4
	v_cvt_u32_f32_e32 v4, v4
	s_sub_i32 s0, 0, s1
	v_mul_f32_e32 v3, 0x4f7ffffe, v3
	v_cvt_u32_f32_e32 v3, v3
	v_mul_lo_u32 v5, s0, v4
	v_writelane_b32 v126, s1, 27
	v_mul_hi_u32 v5, v4, v5
	s_ashr_i32 s0, s14, 31
	v_add_u32_e32 v4, v4, v5
	v_writelane_b32 v126, s0, 28
	s_sub_i32 s0, 0, s2
	buffer_store_dword v4, off, s[96:99], 0 offset:4 ; 4-byte Folded Spill
	v_mul_lo_u32 v4, s0, v3
	s_abs_i32 s0, s20
	v_cvt_f32_u32_e32 v5, s0
	v_mul_hi_u32 v4, v3, v4
	v_add_u32_e32 v3, v3, v4
	buffer_store_dword v3, off, s[96:99], 0 offset:8 ; 4-byte Folded Spill
	v_rcp_iflag_f32_e32 v4, v5
	v_mul_lo_u32 v3, s8, v2
	v_mul_hi_u32 v3, v2, v3
	v_add_u32_e32 v2, v2, v3
	buffer_store_dword v2, off, s[96:99], 0 offset:12 ; 4-byte Folded Spill
	v_mul_f32_e32 v2, 0x4f7ffffe, v4
	v_writelane_b32 v126, s2, 29
	s_ashr_i32 s1, s20, 31
	v_cvt_u32_f32_e32 v2, v2
	v_writelane_b32 v126, s1, 30
	s_abs_i32 s1, s21
	v_cvt_f32_u32_e32 v3, s1
	v_writelane_b32 v126, s0, 31
	s_sub_i32 s0, 0, s0
	v_mul_lo_u32 v4, s0, v2
	v_mul_hi_u32 v4, v2, v4
	s_abs_i32 s2, s22
	v_rcp_iflag_f32_e32 v3, v3
	v_add_u32_e32 v64, v2, v4
	v_cvt_f32_u32_e32 v2, s2
	s_ashr_i32 s0, s21, 31
	v_mul_f32_e32 v3, 0x4f7ffffe, v3
	v_writelane_b32 v126, s0, 32
	v_rcp_iflag_f32_e32 v2, v2
	v_cvt_u32_f32_e32 v3, v3
	v_writelane_b32 v126, s1, 33
	v_writelane_b32 v126, s20, 34
	;; [unrolled: 1-line block ×3, first 2 shown]
	s_sub_i32 s0, 0, s1
	v_mul_f32_e32 v2, 0x4f7ffffe, v2
	v_writelane_b32 v126, s22, 36
	v_mul_lo_u32 v4, s0, v3
	v_cvt_u32_f32_e32 v2, v2
	v_writelane_b32 v126, s23, 37
	s_ashr_i32 s0, s22, 31
	v_writelane_b32 v126, s0, 38
	v_writelane_b32 v126, s2, 39
	v_mul_hi_u32 v4, v3, v4
	s_sub_i32 s0, 0, s2
	v_writelane_b32 v126, s6, 40
	v_add_u32_e32 v65, v3, v4
	v_mul_lo_u32 v3, s0, v2
	v_writelane_b32 v126, s7, 41
	s_mul_i32 s0, s7, s58
	v_writelane_b32 v126, s0, 42
	v_writelane_b32 v126, s16, 43
	v_mul_hi_u32 v3, v2, v3
	v_writelane_b32 v126, s17, 44
                                        ; kill: killed $sgpr4 killed $sgpr5
	v_add_u32_e32 v66, v2, v3
	s_mov_b64 s[4:5], 0
	v_writelane_b32 v126, s59, 45
	s_branch .LBB18_3
.LBB18_2:                               ;   in Loop: Header=BB18_3 Depth=1
	v_readlane_b32 s0, v126, 48
	v_readlane_b32 s1, v126, 49
	s_or_b64 exec, exec, s[0:1]
	v_readlane_b32 s16, v126, 43
	v_readlane_b32 s17, v126, 44
	v_mul_lo_u32 v2, v71, s17
	v_ashrrev_i32_e32 v3, 31, v2
	v_readlane_b32 s0, v126, 16
	v_lshlrev_b64 v[2:3], 2, v[2:3]
	v_readlane_b32 s1, v126, 17
	v_mov_b32_e32 v4, s1
	v_add_co_u32_e32 v5, vcc, s0, v2
	v_readlane_b32 s0, v126, 20
	v_mul_lo_u32 v2, s0, v70
	v_addc_co_u32_e32 v4, vcc, v4, v3, vcc
	v_ashrrev_i32_e32 v3, 31, v2
	v_readlane_b32 s1, v126, 21
	v_lshlrev_b64 v[2:3], 2, v[2:3]
	v_add_co_u32_e32 v5, vcc, v5, v2
	v_mul_lo_u32 v2, s1, v69
	v_addc_co_u32_e32 v4, vcc, v4, v3, vcc
	v_ashrrev_i32_e32 v3, 31, v2
	v_readlane_b32 s2, v126, 22
	v_lshlrev_b64 v[2:3], 2, v[2:3]
	v_add_co_u32_e32 v5, vcc, v5, v2
	;; [unrolled: 6-line block ×3, first 2 shown]
	v_mul_lo_u32 v2, s3, v67
	v_addc_co_u32_e32 v4, vcc, v4, v3, vcc
	v_ashrrev_i32_e32 v3, 31, v2
	v_lshlrev_b64 v[2:3], 2, v[2:3]
	v_add_co_u32_e32 v2, vcc, v5, v2
	v_addc_co_u32_e32 v3, vcc, v4, v3, vcc
	v_readlane_b32 s0, v126, 24
	v_mov_b32_e32 v4, s57
	v_add_co_u32_e32 v0, vcc, s0, v0
	v_readlane_b32 s0, v126, 5
	v_readlane_b32 s4, v126, 46
	v_addc_co_u32_e32 v1, vcc, v1, v4, vcc
	v_readlane_b32 s1, v126, 6
	v_readlane_b32 s5, v126, 47
	v_cmp_le_i64_e32 vcc, s[0:1], v[0:1]
	s_or_b64 s[4:5], vcc, s[4:5]
	global_store_dword v[2:3], v74, off
	s_andn2_b64 exec, exec, s[4:5]
	s_cbranch_execz .LBB18_60
.LBB18_3:                               ; =>This Loop Header: Depth=1
                                        ;     Child Loop BB18_6 Depth 2
	buffer_load_dword v4, off, s[96:99], 0  ; 4-byte Folded Reload
	v_sub_u32_e32 v3, 0, v0
	v_max_i32_e32 v3, v0, v3
	v_writelane_b32 v126, s4, 46
	v_writelane_b32 v126, s5, 47
	v_ashrrev_i32_e32 v2, 31, v0
	v_readlane_b32 s0, v126, 25
	v_xor_b32_e32 v2, s0, v2
	v_readlane_b32 s0, v126, 26
	v_mov_b32_e32 v74, 0
	s_waitcnt vmcnt(0)
	v_mul_hi_u32 v4, v3, v4
	v_mul_lo_u32 v5, v4, s59
	v_sub_u32_e32 v3, v3, v5
	v_add_u32_e32 v5, 1, v4
	v_cmp_le_u32_e32 vcc, s59, v3
	v_cndmask_b32_e32 v4, v4, v5, vcc
	v_subrev_u32_e32 v5, s59, v3
	v_cndmask_b32_e32 v3, v3, v5, vcc
	v_add_u32_e32 v5, 1, v4
	v_cmp_le_u32_e32 vcc, s59, v3
	v_cndmask_b32_e32 v3, v4, v5, vcc
	buffer_load_dword v5, off, s[96:99], 0 offset:4 ; 4-byte Folded Reload
	v_xor_b32_e32 v3, v3, v2
	v_sub_u32_e32 v2, v3, v2
	v_mul_lo_u32 v3, v2, s16
	v_sub_u32_e32 v4, 0, v2
	v_sub_u32_e32 v67, v0, v3
	v_ashrrev_i32_e32 v3, 31, v2
	v_max_i32_e32 v4, v2, v4
	v_xor_b32_e32 v3, s0, v3
	v_readlane_b32 s0, v126, 27
	s_waitcnt vmcnt(0)
	v_mul_hi_u32 v5, v4, v5
	v_mul_lo_u32 v6, v5, s0
	v_sub_u32_e32 v4, v4, v6
	v_add_u32_e32 v6, 1, v5
	v_cmp_le_u32_e32 vcc, s0, v4
	v_cndmask_b32_e32 v5, v5, v6, vcc
	v_subrev_u32_e32 v6, s0, v4
	v_cndmask_b32_e32 v4, v4, v6, vcc
	v_add_u32_e32 v6, 1, v5
	v_cmp_le_u32_e32 vcc, s0, v4
	v_cndmask_b32_e32 v4, v5, v6, vcc
	buffer_load_dword v5, off, s[96:99], 0 offset:8 ; 4-byte Folded Reload
	v_xor_b32_e32 v4, v4, v3
	v_readlane_b32 s0, v126, 1
	v_sub_u32_e32 v3, v4, v3
	v_readlane_b32 s3, v126, 4
	v_mul_lo_u32 v4, v3, s3
	v_sub_u32_e32 v68, v2, v4
	v_sub_u32_e32 v4, 0, v3
	v_ashrrev_i32_e32 v2, 31, v3
	v_readlane_b32 s0, v126, 28
	v_max_i32_e32 v4, v3, v4
	v_xor_b32_e32 v2, s0, v2
	v_readlane_b32 s0, v126, 29
	v_readlane_b32 s2, v126, 3
	;; [unrolled: 1-line block ×3, first 2 shown]
	s_waitcnt vmcnt(0)
	v_mul_hi_u32 v5, v4, v5
	v_mul_lo_u32 v6, v5, s0
	v_sub_u32_e32 v4, v4, v6
	v_add_u32_e32 v6, 1, v5
	v_cmp_le_u32_e32 vcc, s0, v4
	v_cndmask_b32_e32 v5, v5, v6, vcc
	v_subrev_u32_e32 v6, s0, v4
	v_cndmask_b32_e32 v4, v4, v6, vcc
	v_add_u32_e32 v6, 1, v5
	v_cmp_le_u32_e32 vcc, s0, v4
	v_cndmask_b32_e32 v4, v5, v6, vcc
	buffer_load_dword v5, off, s[96:99], 0 offset:12 ; 4-byte Folded Reload
	v_xor_b32_e32 v4, v4, v2
	v_sub_u32_e32 v2, v4, v2
	v_mul_lo_u32 v4, v2, s2
	v_sub_u32_e32 v69, v3, v4
	v_sub_u32_e32 v4, 0, v2
	v_max_i32_e32 v4, v2, v4
	v_readlane_b32 s0, v126, 0
	v_ashrrev_i32_e32 v3, 31, v2
	v_xor_b32_e32 v3, s56, v3
	s_waitcnt vmcnt(0)
	v_mul_hi_u32 v5, v4, v5
	v_mul_lo_u32 v6, v5, s0
	v_sub_u32_e32 v4, v4, v6
	v_add_u32_e32 v6, 1, v5
	v_cmp_le_u32_e32 vcc, s0, v4
	v_cndmask_b32_e32 v5, v5, v6, vcc
	v_subrev_u32_e32 v6, s0, v4
	v_cndmask_b32_e32 v4, v4, v6, vcc
	v_add_u32_e32 v6, 1, v5
	v_cmp_le_u32_e32 vcc, s0, v4
	v_cndmask_b32_e32 v4, v5, v6, vcc
	v_xor_b32_e32 v4, v4, v3
	v_sub_u32_e32 v71, v4, v3
	v_mul_lo_u32 v3, v71, s1
	v_sub_u32_e32 v70, v2, v3
	v_mul_lo_u32 v2, v70, s58
	v_add_u32_e32 v3, s58, v2
	v_cmp_lt_i32_e32 vcc, v2, v3
	s_mov_b64 s[0:1], exec
	v_writelane_b32 v126, s0, 48
	v_writelane_b32 v126, s1, 49
	s_and_b64 s[0:1], s[0:1], vcc
	s_mov_b64 exec, s[0:1]
	s_cbranch_execz .LBB18_2
; %bb.4:                                ;   in Loop: Header=BB18_3 Depth=1
	v_readlane_b32 s0, v126, 13
	v_add_u32_e32 v11, s0, v68
	v_readlane_b32 s0, v126, 15
	v_readlane_b32 s1, v126, 14
	v_mul_lo_u32 v2, s0, v2
	v_add_u32_e32 v5, s1, v67
	v_ashrrev_i32_e32 v3, 31, v2
	v_readlane_b32 s0, v126, 18
	v_lshlrev_b64 v[2:3], 2, v[2:3]
	v_readlane_b32 s1, v126, 19
	v_mov_b32_e32 v4, s1
	v_add_co_u32_e32 v2, vcc, s0, v2
	v_readlane_b32 s0, v126, 40
	v_readlane_b32 s44, v126, 34
	v_mul_lo_u32 v6, s0, v71
	v_readlane_b32 s47, v126, 37
	v_readlane_b32 s1, v126, 41
	v_ashrrev_i32_e32 v7, 31, v6
	v_add_u32_e32 v9, s47, v69
	v_addc_co_u32_e32 v3, vcc, v4, v3, vcc
	v_lshlrev_b64 v[6:7], 2, v[6:7]
	v_readlane_b32 s0, v126, 7
	v_readlane_b32 s1, v126, 8
	v_add_co_u32_e32 v72, vcc, s0, v6
	v_sub_u32_e32 v6, 0, v9
	v_mov_b32_e32 v4, s1
	v_max_i32_e32 v6, v9, v6
	v_addc_co_u32_e32 v73, vcc, v4, v7, vcc
	v_mul_hi_u32 v7, v6, v64
	v_readlane_b32 s1, v126, 31
	v_mul_lo_u32 v8, v7, s1
	v_sub_u32_e32 v6, v6, v8
	v_add_u32_e32 v8, 1, v7
	v_cmp_le_u32_e32 vcc, s1, v6
	v_cndmask_b32_e32 v7, v7, v8, vcc
	v_subrev_u32_e32 v8, s1, v6
	v_cndmask_b32_e32 v6, v6, v8, vcc
	v_ashrrev_i32_e32 v4, 31, v9
	v_readlane_b32 s20, v126, 30
	v_add_u32_e32 v8, 1, v7
	v_cmp_le_u32_e32 vcc, s1, v6
	v_xor_b32_e32 v4, s20, v4
	v_cndmask_b32_e32 v6, v7, v8, vcc
	v_xor_b32_e32 v6, v6, v4
	v_sub_u32_e32 v7, v6, v4
	v_sub_u32_e32 v6, 0, v11
	s_mov_b32 s0, s56
	s_mov_b32 s33, s58
	v_readlane_b32 s56, v126, 9
	v_max_i32_e32 v6, v11, v6
	s_mov_b32 s56, s0
	v_mul_hi_u32 v8, v6, v65
	v_readlane_b32 s0, v126, 33
	v_mul_lo_u32 v10, v8, s0
	v_sub_u32_e32 v6, v6, v10
	v_add_u32_e32 v10, 1, v8
	v_cmp_le_u32_e32 vcc, s0, v6
	v_cndmask_b32_e32 v8, v8, v10, vcc
	v_subrev_u32_e32 v10, s0, v6
	v_cndmask_b32_e32 v6, v6, v10, vcc
	v_add_u32_e32 v10, 1, v8
	v_cmp_le_u32_e32 vcc, s0, v6
	v_cndmask_b32_e32 v6, v8, v10, vcc
	v_sub_u32_e32 v8, 0, v5
	v_max_i32_e32 v8, v5, v8
	v_mul_hi_u32 v10, v8, v66
	v_readlane_b32 s8, v126, 39
	v_mul_lo_u32 v12, v10, s8
	v_sub_u32_e32 v8, v8, v12
	v_add_u32_e32 v12, 1, v10
	v_cmp_le_u32_e32 vcc, s8, v8
	v_cndmask_b32_e32 v10, v10, v12, vcc
	v_subrev_u32_e32 v12, s8, v8
	v_cndmask_b32_e32 v8, v8, v12, vcc
	v_add_u32_e32 v12, 1, v10
	v_cmp_le_u32_e32 vcc, s8, v8
	v_cndmask_b32_e32 v8, v10, v12, vcc
	v_add_u32_e32 v15, -2, v11
	v_sub_u32_e32 v10, 2, v11
	v_max_i32_e32 v10, v15, v10
	v_mul_hi_u32 v12, v10, v65
	v_mul_lo_u32 v13, v12, s0
	v_sub_u32_e32 v10, v10, v13
	v_add_u32_e32 v13, 1, v12
	v_cmp_le_u32_e32 vcc, s0, v10
	v_cndmask_b32_e32 v12, v12, v13, vcc
	v_subrev_u32_e32 v13, s0, v10
	v_cndmask_b32_e32 v10, v10, v13, vcc
	v_ashrrev_i32_e32 v4, 31, v11
	v_readlane_b32 s4, v126, 32
	v_add_u32_e32 v13, 1, v12
	v_cmp_le_u32_e32 vcc, s0, v10
	v_xor_b32_e32 v4, s4, v4
	v_cndmask_b32_e32 v10, v12, v13, vcc
	v_add_u32_e32 v17, -1, v11
	v_sub_u32_e32 v12, 1, v11
	v_xor_b32_e32 v6, v6, v4
	v_max_i32_e32 v12, v17, v12
	v_sub_u32_e32 v4, v6, v4
	v_ashrrev_i32_e32 v6, 31, v5
	v_readlane_b32 s9, v126, 38
	v_mul_hi_u32 v13, v12, v65
	v_xor_b32_e32 v6, s9, v6
	v_mul_lo_u32 v14, v13, s0
	v_xor_b32_e32 v8, v8, v6
	v_sub_u32_e32 v12, v12, v14
	v_sub_u32_e32 v6, v8, v6
	v_ashrrev_i32_e32 v8, 31, v15
	v_add_u32_e32 v14, 1, v13
	v_cmp_le_u32_e32 vcc, s0, v12
	v_xor_b32_e32 v8, s4, v8
	v_cndmask_b32_e32 v13, v13, v14, vcc
	v_subrev_u32_e32 v14, s0, v12
	v_xor_b32_e32 v10, v10, v8
	v_cndmask_b32_e32 v12, v12, v14, vcc
	v_sub_u32_e32 v8, v10, v8
	v_ashrrev_i32_e32 v10, 31, v17
	v_add_u32_e32 v14, 1, v13
	v_cmp_le_u32_e32 vcc, s0, v12
	v_xor_b32_e32 v10, s4, v10
	v_cndmask_b32_e32 v12, v13, v14, vcc
	v_xor_b32_e32 v12, v12, v10
	v_add_u32_e32 v18, -2, v9
	v_sub_u32_e32 v10, v12, v10
	v_sub_u32_e32 v12, 0, v18
	v_max_i32_e32 v12, v18, v12
	v_mul_hi_u32 v13, v12, v64
	v_mul_lo_u32 v14, v13, s1
	v_sub_u32_e32 v12, v12, v14
	v_add_u32_e32 v14, 1, v13
	v_cmp_le_u32_e32 vcc, s1, v12
	v_cndmask_b32_e32 v13, v13, v14, vcc
	v_subrev_u32_e32 v14, s1, v12
	v_cndmask_b32_e32 v12, v12, v14, vcc
	v_add_u32_e32 v14, 1, v13
	v_cmp_le_u32_e32 vcc, s1, v12
	v_add_u32_e32 v20, -1, v9
	v_cndmask_b32_e32 v26, v13, v14, vcc
	v_sub_u32_e32 v13, 0, v20
	v_max_i32_e32 v13, v20, v13
	v_mul_hi_u32 v14, v13, v64
	v_mul_lo_u32 v19, v14, s1
	v_sub_u32_e32 v13, v13, v19
	v_add_u32_e32 v19, 1, v14
	v_cmp_le_u32_e32 vcc, s1, v13
	v_cndmask_b32_e32 v14, v14, v19, vcc
	v_subrev_u32_e32 v19, s1, v13
	v_cndmask_b32_e32 v13, v13, v19, vcc
	v_ashrrev_i32_e32 v12, 31, v20
	v_add_u32_e32 v19, 1, v14
	v_cmp_le_u32_e32 vcc, s1, v13
	v_xor_b32_e32 v12, s20, v12
	v_cndmask_b32_e32 v13, v14, v19, vcc
	v_or_b32_e32 v24, v6, v4
	v_xor_b32_e32 v13, v13, v12
	v_readlane_b32 s59, v126, 12
	v_sub_u32_e32 v13, v13, v12
	v_or_b32_e32 v12, v24, v7
	v_readlane_b32 s58, v126, 11
	v_cmp_lt_i32_e64 s[0:1], -1, v12
	v_cmp_gt_i32_e32 vcc, s59, v6
	v_add_u32_e32 v19, -1, v5
	v_sub_u32_e32 v14, 1, v5
	v_readlane_b32 s57, v126, 10
	v_cmp_gt_i32_e64 s[2:3], s58, v4
	s_and_b64 s[0:1], vcc, s[0:1]
	v_max_i32_e32 v14, v19, v14
	v_cmp_gt_i32_e64 s[6:7], s57, v7
	s_and_b64 s[0:1], s[0:1], s[2:3]
	v_mul_hi_u32 v21, v14, v66
	s_and_b64 s[0:1], s[0:1], s[6:7]
	v_mul_lo_u32 v23, v21, s8
	v_readlane_b32 s45, v126, 35
	v_readlane_b32 s46, v126, 36
	v_writelane_b32 v126, s0, 50
	v_sub_u32_e32 v14, v14, v23
	v_writelane_b32 v126, s1, 51
	v_add_u32_e32 v23, 1, v21
	v_cmp_le_u32_e64 s[0:1], s8, v14
	v_cndmask_b32_e64 v21, v21, v23, s[0:1]
	v_subrev_u32_e32 v23, s8, v14
	v_cndmask_b32_e64 v14, v14, v23, s[0:1]
	v_ashrrev_i32_e32 v12, 31, v19
	v_add_u32_e32 v23, 1, v21
	v_cmp_le_u32_e64 s[0:1], s8, v14
	v_xor_b32_e32 v12, s9, v12
	v_cndmask_b32_e64 v14, v21, v23, s[0:1]
	v_xor_b32_e32 v14, v14, v12
	v_sub_u32_e32 v12, v14, v12
	v_or_b32_e32 v28, v12, v4
	v_or_b32_e32 v14, v28, v7
	v_cmp_lt_i32_e64 s[4:5], -1, v14
	v_cmp_gt_i32_e64 s[0:1], s59, v12
	v_add_u32_e32 v21, -2, v5
	v_sub_u32_e32 v25, 2, v5
	s_and_b64 s[4:5], s[0:1], s[4:5]
	v_max_i32_e32 v25, v21, v25
	s_and_b64 s[4:5], s[4:5], s[2:3]
	v_mul_hi_u32 v31, v25, v66
	s_and_b64 s[4:5], s[4:5], s[6:7]
	v_mul_lo_u32 v32, v31, s8
	v_writelane_b32 v126, s4, 52
	v_sub_u32_e32 v25, v25, v32
	v_writelane_b32 v126, s5, 53
	v_add_u32_e32 v32, 1, v31
	v_cmp_le_u32_e64 s[4:5], s8, v25
	v_cndmask_b32_e64 v31, v31, v32, s[4:5]
	v_subrev_u32_e32 v32, s8, v25
	v_cndmask_b32_e64 v25, v25, v32, s[4:5]
	v_ashrrev_i32_e32 v14, 31, v21
	v_add_u32_e32 v32, 1, v31
	v_cmp_le_u32_e64 s[4:5], s8, v25
	v_xor_b32_e32 v14, s9, v14
	v_cndmask_b32_e64 v25, v31, v32, s[4:5]
	v_xor_b32_e32 v25, v25, v14
	v_sub_u32_e32 v14, v25, v14
	v_or_b32_e32 v32, v14, v4
	v_or_b32_e32 v34, v32, v7
	v_cmp_lt_i32_e64 s[8:9], -1, v34
	v_cmp_gt_i32_e64 s[4:5], s59, v14
	s_and_b64 s[8:9], s[4:5], s[8:9]
	s_and_b64 s[8:9], s[8:9], s[2:3]
	v_or_b32_e32 v22, v6, v10
	s_and_b64 s[8:9], s[8:9], s[6:7]
	v_writelane_b32 v126, s8, 54
	v_or_b32_e32 v35, v22, v7
	v_writelane_b32 v126, s9, 55
	v_cmp_lt_i32_e64 s[8:9], -1, v35
	v_cmp_gt_i32_e64 s[10:11], s58, v10
	s_and_b64 s[8:9], vcc, s[8:9]
	s_and_b64 s[8:9], s[8:9], s[10:11]
	v_or_b32_e32 v27, v12, v10
	s_and_b64 s[8:9], s[8:9], s[6:7]
	v_writelane_b32 v126, s8, 56
	v_or_b32_e32 v36, v27, v7
	v_writelane_b32 v126, s9, 57
	v_cmp_lt_i32_e64 s[8:9], -1, v36
	s_and_b64 s[8:9], s[0:1], s[8:9]
	s_and_b64 s[8:9], s[8:9], s[10:11]
	v_or_b32_e32 v31, v14, v10
	s_and_b64 s[8:9], s[8:9], s[6:7]
	v_writelane_b32 v126, s8, 58
	v_or_b32_e32 v37, v31, v7
	v_writelane_b32 v126, s9, 59
	v_cmp_lt_i32_e64 s[8:9], -1, v37
	s_and_b64 s[8:9], s[4:5], s[8:9]
	v_or_b32_e32 v16, v6, v8
	s_and_b64 s[8:9], s[8:9], s[10:11]
	s_and_b64 s[8:9], s[8:9], s[6:7]
	v_or_b32_e32 v38, v16, v7
	v_writelane_b32 v126, s8, 60
	v_cmp_lt_i32_e64 s[12:13], -1, v38
	v_writelane_b32 v126, s9, 61
	v_cmp_gt_i32_e64 s[8:9], s58, v8
	s_and_b64 s[12:13], vcc, s[12:13]
	s_and_b64 s[12:13], s[12:13], s[8:9]
	v_or_b32_e32 v23, v12, v8
	s_and_b64 s[12:13], s[12:13], s[6:7]
	v_writelane_b32 v126, s12, 62
	v_or_b32_e32 v39, v23, v7
	v_writelane_b32 v126, s13, 63
	v_cmp_lt_i32_e64 s[12:13], -1, v39
	s_and_b64 s[12:13], s[0:1], s[12:13]
	s_and_b64 s[12:13], s[12:13], s[8:9]
	v_or_b32_e32 v25, v14, v8
	s_and_b64 s[12:13], s[12:13], s[6:7]
                                        ; implicit-def: $vgpr127 : SGPR spill to VGPR lane
	v_or_b32_e32 v40, v25, v7
	v_writelane_b32 v127, s12, 0
	v_writelane_b32 v127, s13, 1
	v_cmp_lt_i32_e64 s[12:13], -1, v40
	s_and_b64 s[12:13], s[4:5], s[12:13]
	s_and_b64 s[12:13], s[12:13], s[8:9]
	v_or_b32_e32 v29, v24, v13
	s_and_b64 s[6:7], s[12:13], s[6:7]
	v_writelane_b32 v127, s6, 2
	v_cmp_lt_i32_e64 s[12:13], -1, v29
	s_and_b64 s[14:15], vcc, s[2:3]
	v_or_b32_e32 v30, v28, v13
	v_writelane_b32 v127, s7, 3
	v_cmp_gt_i32_e64 s[6:7], s57, v13
	s_and_b64 s[12:13], s[14:15], s[12:13]
	s_and_b64 s[74:75], s[12:13], s[6:7]
	v_cmp_lt_i32_e64 s[12:13], -1, v30
	s_and_b64 s[16:17], s[0:1], s[2:3]
	s_and_b64 s[12:13], s[16:17], s[12:13]
	;; [unrolled: 1-line block ×3, first 2 shown]
	v_or_b32_e32 v33, v32, v13
	v_writelane_b32 v127, s12, 4
	v_writelane_b32 v127, s13, 5
	v_cmp_lt_i32_e64 s[12:13], -1, v33
	s_and_b64 s[18:19], s[4:5], s[2:3]
	v_or_b32_e32 v34, v22, v13
	s_and_b64 s[2:3], s[18:19], s[12:13]
	s_and_b64 s[68:69], s[2:3], s[6:7]
	v_cmp_lt_i32_e64 s[2:3], -1, v34
	s_and_b64 s[2:3], vcc, s[2:3]
	v_or_b32_e32 v35, v27, v13
	s_and_b64 s[2:3], s[2:3], s[10:11]
	s_and_b64 s[70:71], s[2:3], s[6:7]
	v_cmp_lt_i32_e64 s[2:3], -1, v35
	s_and_b64 s[2:3], s[0:1], s[2:3]
	v_or_b32_e32 v36, v31, v13
	s_and_b64 s[2:3], s[2:3], s[10:11]
	s_and_b64 s[64:65], s[2:3], s[6:7]
	v_cmp_lt_i32_e64 s[2:3], -1, v36
	s_and_b64 s[2:3], s[4:5], s[2:3]
	v_or_b32_e32 v37, v16, v13
	s_and_b64 s[2:3], s[2:3], s[10:11]
	s_and_b64 s[66:67], s[2:3], s[6:7]
	v_cmp_lt_i32_e64 s[2:3], -1, v37
	s_and_b64 s[2:3], vcc, s[2:3]
	v_or_b32_e32 v38, v23, v13
	s_and_b64 s[2:3], s[2:3], s[8:9]
	s_and_b64 s[88:89], s[2:3], s[6:7]
	v_cmp_lt_i32_e64 s[2:3], -1, v38
	s_and_b64 s[2:3], s[0:1], s[2:3]
	v_ashrrev_i32_e32 v29, 31, v18
	v_or_b32_e32 v39, v25, v13
	s_and_b64 s[2:3], s[2:3], s[8:9]
	v_xor_b32_e32 v29, s20, v29
	s_and_b64 s[60:61], s[2:3], s[6:7]
	v_cmp_lt_i32_e64 s[2:3], -1, v39
	v_xor_b32_e32 v26, v26, v29
	s_and_b64 s[2:3], s[4:5], s[2:3]
	v_sub_u32_e32 v52, v26, v29
	s_and_b64 s[2:3], s[2:3], s[8:9]
	v_or_b32_e32 v24, v24, v52
	s_and_b64 s[62:63], s[2:3], s[6:7]
	v_cmp_lt_i32_e64 s[2:3], -1, v24
	v_or_b32_e32 v24, v28, v52
	s_and_b64 s[14:15], s[14:15], s[2:3]
	v_cmp_lt_i32_e64 s[2:3], -1, v24
	;; [unrolled: 3-line block ×4, first 2 shown]
	v_or_b32_e32 v24, v27, v52
	s_and_b64 s[2:3], vcc, s[2:3]
	s_and_b64 s[20:21], s[2:3], s[10:11]
	v_cmp_lt_i32_e64 s[2:3], -1, v24
	v_or_b32_e32 v26, v31, v52
	s_and_b64 s[2:3], s[0:1], s[2:3]
	s_and_b64 s[22:23], s[2:3], s[10:11]
	v_cmp_lt_i32_e64 s[2:3], -1, v26
	s_and_b64 s[2:3], s[4:5], s[2:3]
	v_mul_lo_u32 v22, v7, s44
	v_mul_lo_u32 v24, v4, s45
	;; [unrolled: 1-line block ×4, first 2 shown]
	s_and_b64 s[24:25], s[2:3], s[10:11]
	v_cmp_eq_u32_e64 s[2:3], v22, v9
	v_cmp_eq_u32_e64 s[6:7], v24, v11
	;; [unrolled: 1-line block ×4, first 2 shown]
	v_mul_lo_u32 v9, v13, s44
	s_and_b64 s[26:27], s[2:3], s[6:7]
	s_and_b64 s[28:29], s[2:3], s[10:11]
	;; [unrolled: 1-line block ×3, first 2 shown]
	v_cmp_eq_u32_e64 s[2:3], v9, v20
	v_mul_lo_u32 v9, v52, s44
	s_and_b64 s[34:35], s[2:3], s[6:7]
	s_and_b64 s[36:37], s[2:3], s[10:11]
	;; [unrolled: 1-line block ×3, first 2 shown]
	v_cmp_eq_u32_e64 s[2:3], v9, v18
	v_or_b32_e32 v9, v16, v52
	s_and_b64 s[42:43], s[2:3], s[6:7]
	s_and_b64 s[48:49], s[2:3], s[10:11]
	;; [unrolled: 1-line block ×3, first 2 shown]
	v_cmp_lt_i32_e64 s[2:3], -1, v9
	v_or_b32_e32 v9, v23, v52
	s_and_b64 s[2:3], vcc, s[2:3]
	v_cmp_lt_i32_e32 vcc, -1, v9
	v_or_b32_e32 v9, v25, v52
	s_and_b64 s[0:1], s[0:1], vcc
	v_cmp_lt_i32_e32 vcc, -1, v9
	s_and_b64 s[4:5], s[4:5], vcc
	s_and_b64 s[2:3], s[2:3], s[8:9]
	s_and_b64 s[0:1], s[0:1], s[8:9]
	;; [unrolled: 1-line block ×3, first 2 shown]
	v_cmp_gt_i32_e32 vcc, s57, v52
	v_mul_lo_u32 v9, v6, s46
	s_and_b64 s[86:87], s[14:15], vcc
	s_and_b64 s[80:81], s[16:17], vcc
	;; [unrolled: 1-line block ×9, first 2 shown]
	v_cmp_eq_u32_e32 vcc, v9, v5
	v_mul_lo_u32 v5, v7, s58
	v_add_u32_e32 v7, v4, v5
	v_mul_lo_u32 v7, v7, s59
	v_add_u32_e32 v16, v6, v7
	v_add_u32_e32 v18, v12, v7
	;; [unrolled: 1-line block ×5, first 2 shown]
	v_mul_lo_u32 v5, v5, s59
	v_mul_lo_u32 v7, v7, s59
	v_add_u32_e32 v28, v6, v5
	v_add_u32_e32 v30, v12, v5
	;; [unrolled: 1-line block ×3, first 2 shown]
	v_mul_lo_u32 v5, v13, s58
	v_add_u32_e32 v22, v6, v7
	v_add_u32_e32 v24, v12, v7
	;; [unrolled: 1-line block ×4, first 2 shown]
	v_mul_lo_u32 v7, v7, s59
	v_add_u32_e32 v34, v6, v7
	v_add_u32_e32 v36, v12, v7
	;; [unrolled: 1-line block ×5, first 2 shown]
	v_mul_lo_u32 v5, v5, s59
	v_add_u32_e32 v46, v6, v5
	v_add_u32_e32 v48, v12, v5
	;; [unrolled: 1-line block ×3, first 2 shown]
	v_mul_lo_u32 v5, v52, s58
	v_add_u32_e32 v4, v4, v5
	v_mul_lo_u32 v4, v4, s59
	v_add_u32_e32 v52, v6, v4
	v_add_u32_e32 v54, v12, v4
	;; [unrolled: 1-line block ×4, first 2 shown]
	v_mul_lo_u32 v4, v4, s59
	v_add_u32_e32 v58, v6, v4
	v_add_u32_e32 v60, v12, v4
	;; [unrolled: 1-line block ×4, first 2 shown]
	v_mul_lo_u32 v7, v7, s59
	v_mul_lo_u32 v4, v4, s59
	;; [unrolled: 1-line block ×4, first 2 shown]
	v_add_u32_e32 v40, v6, v7
	v_add_u32_e32 v42, v12, v7
	;; [unrolled: 1-line block ×6, first 2 shown]
	v_cmp_eq_u32_e64 s[52:53], v11, v19
	v_cmp_eq_u32_e64 s[54:55], v15, v21
	v_ashrrev_i32_e32 v17, 31, v16
	v_ashrrev_i32_e32 v19, 31, v18
	;; [unrolled: 1-line block ×18, first 2 shown]
	s_mov_b32 s58, s33
	v_ashrrev_i32_e32 v53, 31, v52
	v_ashrrev_i32_e32 v55, 31, v54
	;; [unrolled: 1-line block ×9, first 2 shown]
	v_readlane_b32 s33, v126, 42
	s_mov_b32 s57, 0
	s_and_b64 s[0:1], s[26:27], vcc
	s_and_b64 s[2:3], s[26:27], s[52:53]
	s_and_b64 s[4:5], s[26:27], s[54:55]
	s_and_b64 s[6:7], s[28:29], vcc
	s_and_b64 s[8:9], s[28:29], s[52:53]
	s_and_b64 s[10:11], s[28:29], s[54:55]
	;; [unrolled: 3-line block ×9, first 2 shown]
	v_readlane_b32 s59, v126, 45
	v_mul_lo_u32 v4, s33, v70
	v_mov_b32_e32 v74, 0
	v_lshlrev_b64 v[6:7], 2, v[16:17]
	v_lshlrev_b64 v[8:9], 2, v[18:19]
	;; [unrolled: 1-line block ×27, first 2 shown]
	s_mov_b32 s33, s58
	s_branch .LBB18_6
.LBB18_5:                               ;   in Loop: Header=BB18_6 Depth=2
	s_or_b64 exec, exec, s[72:73]
	s_waitcnt vmcnt(26)
	v_fma_f32 v5, v75, v5, v74
	v_cndmask_b32_e64 v5, v74, v5, s[0:1]
	s_waitcnt vmcnt(25)
	v_fma_f32 v74, v78, v80, v5
	v_cndmask_b32_e64 v5, v5, v74, s[2:3]
	;; [unrolled: 3-line block ×26, first 2 shown]
	v_readlane_b32 s72, v126, 40
	s_waitcnt vmcnt(0)
	v_fma_f32 v60, v63, v61, v5
	v_add_co_u32_e32 v2, vcc, 0x6c, v2
	s_add_i32 s33, s33, -1
	v_readlane_b32 s73, v126, 41
	v_cndmask_b32_e64 v74, v5, v60, s[54:55]
	v_addc_co_u32_e32 v3, vcc, 0, v3, vcc
	s_cmp_eq_u32 s33, 0
	v_add_u32_e32 v4, s73, v4
	s_cbranch_scc1 .LBB18_2
.LBB18_6:                               ;   Parent Loop BB18_3 Depth=1
                                        ; =>  This Inner Loop Header: Depth=2
	global_load_dword v75, v[2:3], off
	v_ashrrev_i32_e32 v5, 31, v4
	v_lshlrev_b64 v[60:61], 2, v[4:5]
	v_add_co_u32_e32 v76, vcc, v72, v60
	v_addc_co_u32_e32 v77, vcc, v73, v61, vcc
	v_mov_b32_e32 v5, 0
	s_mov_b64 s[72:73], exec
	v_readlane_b32 vcc_lo, v126, 50
	v_readlane_b32 vcc_hi, v126, 51
	s_and_b64 vcc, s[72:73], vcc
	s_mov_b64 exec, vcc
	s_cbranch_execz .LBB18_8
; %bb.7:                                ;   in Loop: Header=BB18_6 Depth=2
	v_add_co_u32_e32 v60, vcc, v76, v6
	v_addc_co_u32_e32 v61, vcc, v77, v7, vcc
	global_load_dword v5, v[60:61], off
.LBB18_8:                               ;   in Loop: Header=BB18_6 Depth=2
	s_or_b64 exec, exec, s[72:73]
	global_load_dword v78, v[2:3], off offset:4
	v_mov_b32_e32 v79, 0
	v_mov_b32_e32 v80, 0
	s_mov_b64 s[72:73], exec
	v_readlane_b32 vcc_lo, v126, 52
	v_readlane_b32 vcc_hi, v126, 53
	s_and_b64 vcc, s[72:73], vcc
	s_mov_b64 exec, vcc
	s_cbranch_execz .LBB18_10
; %bb.9:                                ;   in Loop: Header=BB18_6 Depth=2
	v_add_co_u32_e32 v60, vcc, v76, v8
	v_addc_co_u32_e32 v61, vcc, v77, v9, vcc
	global_load_dword v80, v[60:61], off
.LBB18_10:                              ;   in Loop: Header=BB18_6 Depth=2
	s_or_b64 exec, exec, s[72:73]
	global_load_dword v81, v[2:3], off offset:8
	s_mov_b64 s[72:73], exec
	v_readlane_b32 vcc_lo, v126, 54
	v_readlane_b32 vcc_hi, v126, 55
	s_and_b64 vcc, s[72:73], vcc
	s_mov_b64 exec, vcc
	s_cbranch_execz .LBB18_12
; %bb.11:                               ;   in Loop: Header=BB18_6 Depth=2
	v_add_co_u32_e32 v60, vcc, v76, v10
	v_addc_co_u32_e32 v61, vcc, v77, v11, vcc
	global_load_dword v79, v[60:61], off
.LBB18_12:                              ;   in Loop: Header=BB18_6 Depth=2
	s_or_b64 exec, exec, s[72:73]
	global_load_dword v82, v[2:3], off offset:12
	v_mov_b32_e32 v83, 0
	v_mov_b32_e32 v84, 0
	s_mov_b64 s[72:73], exec
	v_readlane_b32 vcc_lo, v126, 56
	v_readlane_b32 vcc_hi, v126, 57
	s_and_b64 vcc, s[72:73], vcc
	s_mov_b64 exec, vcc
	s_cbranch_execz .LBB18_14
; %bb.13:                               ;   in Loop: Header=BB18_6 Depth=2
	v_add_co_u32_e32 v60, vcc, v76, v12
	v_addc_co_u32_e32 v61, vcc, v77, v13, vcc
	global_load_dword v84, v[60:61], off
.LBB18_14:                              ;   in Loop: Header=BB18_6 Depth=2
	s_or_b64 exec, exec, s[72:73]
	global_load_dword v85, v[2:3], off offset:16
	s_mov_b64 s[72:73], exec
	v_readlane_b32 vcc_lo, v126, 58
	v_readlane_b32 vcc_hi, v126, 59
	s_and_b64 vcc, s[72:73], vcc
	s_mov_b64 exec, vcc
	s_cbranch_execz .LBB18_16
; %bb.15:                               ;   in Loop: Header=BB18_6 Depth=2
	v_add_co_u32_e32 v60, vcc, v76, v14
	v_addc_co_u32_e32 v61, vcc, v77, v15, vcc
	global_load_dword v83, v[60:61], off
.LBB18_16:                              ;   in Loop: Header=BB18_6 Depth=2
	s_or_b64 exec, exec, s[72:73]
	global_load_dword v86, v[2:3], off offset:20
	v_mov_b32_e32 v87, 0
	v_mov_b32_e32 v88, 0
	s_mov_b64 s[72:73], exec
	v_readlane_b32 vcc_lo, v126, 60
	v_readlane_b32 vcc_hi, v126, 61
	s_and_b64 vcc, s[72:73], vcc
	s_mov_b64 exec, vcc
	s_cbranch_execz .LBB18_18
; %bb.17:                               ;   in Loop: Header=BB18_6 Depth=2
	v_add_co_u32_e32 v60, vcc, v76, v16
	v_addc_co_u32_e32 v61, vcc, v77, v17, vcc
	global_load_dword v88, v[60:61], off
.LBB18_18:                              ;   in Loop: Header=BB18_6 Depth=2
	;; [unrolled: 28-line block ×3, first 2 shown]
	s_or_b64 exec, exec, s[72:73]
	global_load_dword v93, v[2:3], off offset:32
	s_mov_b64 s[72:73], exec
	v_readlane_b32 vcc_lo, v127, 2
	v_readlane_b32 vcc_hi, v127, 3
	s_and_b64 vcc, s[72:73], vcc
	s_mov_b64 exec, vcc
	s_cbranch_execz .LBB18_24
; %bb.23:                               ;   in Loop: Header=BB18_6 Depth=2
	v_add_co_u32_e32 v60, vcc, v76, v22
	v_addc_co_u32_e32 v61, vcc, v77, v23, vcc
	global_load_dword v91, v[60:61], off
.LBB18_24:                              ;   in Loop: Header=BB18_6 Depth=2
	s_or_b64 exec, exec, s[72:73]
	global_load_dword v94, v[2:3], off offset:36
	v_mov_b32_e32 v95, 0
	v_mov_b32_e32 v96, 0
	s_and_saveexec_b64 s[72:73], s[74:75]
	s_cbranch_execz .LBB18_26
; %bb.25:                               ;   in Loop: Header=BB18_6 Depth=2
	v_add_co_u32_e32 v60, vcc, v76, v24
	v_addc_co_u32_e32 v61, vcc, v77, v25, vcc
	global_load_dword v96, v[60:61], off
.LBB18_26:                              ;   in Loop: Header=BB18_6 Depth=2
	s_or_b64 exec, exec, s[72:73]
	global_load_dword v97, v[2:3], off offset:40
	s_mov_b64 s[72:73], exec
	v_readlane_b32 vcc_lo, v127, 4
	v_readlane_b32 vcc_hi, v127, 5
	s_and_b64 vcc, s[72:73], vcc
	s_mov_b64 exec, vcc
	s_cbranch_execz .LBB18_28
; %bb.27:                               ;   in Loop: Header=BB18_6 Depth=2
	v_add_co_u32_e32 v60, vcc, v76, v26
	v_addc_co_u32_e32 v61, vcc, v77, v27, vcc
	global_load_dword v95, v[60:61], off
.LBB18_28:                              ;   in Loop: Header=BB18_6 Depth=2
	s_or_b64 exec, exec, s[72:73]
	global_load_dword v98, v[2:3], off offset:44
	v_mov_b32_e32 v99, 0
	v_mov_b32_e32 v100, 0
	s_and_saveexec_b64 s[72:73], s[68:69]
	s_cbranch_execz .LBB18_30
; %bb.29:                               ;   in Loop: Header=BB18_6 Depth=2
	v_add_co_u32_e32 v60, vcc, v76, v28
	v_addc_co_u32_e32 v61, vcc, v77, v29, vcc
	global_load_dword v100, v[60:61], off
.LBB18_30:                              ;   in Loop: Header=BB18_6 Depth=2
	s_or_b64 exec, exec, s[72:73]
	global_load_dword v101, v[2:3], off offset:48
	s_and_saveexec_b64 s[72:73], s[70:71]
	s_cbranch_execz .LBB18_32
; %bb.31:                               ;   in Loop: Header=BB18_6 Depth=2
	v_add_co_u32_e32 v60, vcc, v76, v30
	v_addc_co_u32_e32 v61, vcc, v77, v31, vcc
	global_load_dword v99, v[60:61], off
.LBB18_32:                              ;   in Loop: Header=BB18_6 Depth=2
	s_or_b64 exec, exec, s[72:73]
	global_load_dword v102, v[2:3], off offset:52
	v_mov_b32_e32 v103, 0
	v_mov_b32_e32 v104, 0
	s_and_saveexec_b64 s[72:73], s[64:65]
	s_cbranch_execz .LBB18_34
; %bb.33:                               ;   in Loop: Header=BB18_6 Depth=2
	v_add_co_u32_e32 v60, vcc, v76, v32
	v_addc_co_u32_e32 v61, vcc, v77, v33, vcc
	global_load_dword v104, v[60:61], off
.LBB18_34:                              ;   in Loop: Header=BB18_6 Depth=2
	s_or_b64 exec, exec, s[72:73]
	global_load_dword v105, v[2:3], off offset:56
	s_and_saveexec_b64 s[72:73], s[66:67]
	;; [unrolled: 20-line block ×8, first 2 shown]
	s_cbranch_execz .LBB18_5
; %bb.59:                               ;   in Loop: Header=BB18_6 Depth=2
	v_add_co_u32_e32 v76, vcc, v76, v58
	v_addc_co_u32_e32 v77, vcc, v77, v59, vcc
	global_load_dword v61, v[76:77], off
	s_branch .LBB18_5
.LBB18_60:
	s_endpgm
	.section	.rodata,"a",@progbits
	.p2align	6, 0x0
	.amdhsa_kernel _ZN2at6native12_GLOBAL__N_143conv_depthwise3d_cuda_backward_input_kernelIffLi3ELi3ELi3ELi1ELi1ELi1ELin1ELin1ELin1EEEvN5torch10headeronly6detail27GenericPackedTensorAccessorINS5_14TensorAccessorIN3c108ArrayRefIlEEKT_Lm4ENS4_16DefaultPtrTraitsEiEENS_6detail16IndexBoundsCheckILm5EiEESC_Lm5ESD_iEENS6_INS7_ISA_SB_Lm4ESD_iEESH_SB_Lm5ESD_iEESI_iiiiiiiii
		.amdhsa_group_segment_fixed_size 0
		.amdhsa_private_segment_fixed_size 20
		.amdhsa_kernarg_size 440
		.amdhsa_user_sgpr_count 6
		.amdhsa_user_sgpr_private_segment_buffer 1
		.amdhsa_user_sgpr_dispatch_ptr 0
		.amdhsa_user_sgpr_queue_ptr 0
		.amdhsa_user_sgpr_kernarg_segment_ptr 1
		.amdhsa_user_sgpr_dispatch_id 0
		.amdhsa_user_sgpr_flat_scratch_init 0
		.amdhsa_user_sgpr_kernarg_preload_length 0
		.amdhsa_user_sgpr_kernarg_preload_offset 0
		.amdhsa_user_sgpr_private_segment_size 0
		.amdhsa_uses_dynamic_stack 0
		.amdhsa_system_sgpr_private_segment_wavefront_offset 1
		.amdhsa_system_sgpr_workgroup_id_x 1
		.amdhsa_system_sgpr_workgroup_id_y 0
		.amdhsa_system_sgpr_workgroup_id_z 0
		.amdhsa_system_sgpr_workgroup_info 0
		.amdhsa_system_vgpr_workitem_id 0
		.amdhsa_next_free_vgpr 128
		.amdhsa_next_free_sgpr 100
		.amdhsa_accum_offset 128
		.amdhsa_reserve_vcc 1
		.amdhsa_reserve_flat_scratch 0
		.amdhsa_float_round_mode_32 0
		.amdhsa_float_round_mode_16_64 0
		.amdhsa_float_denorm_mode_32 3
		.amdhsa_float_denorm_mode_16_64 3
		.amdhsa_dx10_clamp 1
		.amdhsa_ieee_mode 1
		.amdhsa_fp16_overflow 0
		.amdhsa_tg_split 0
		.amdhsa_exception_fp_ieee_invalid_op 0
		.amdhsa_exception_fp_denorm_src 0
		.amdhsa_exception_fp_ieee_div_zero 0
		.amdhsa_exception_fp_ieee_overflow 0
		.amdhsa_exception_fp_ieee_underflow 0
		.amdhsa_exception_fp_ieee_inexact 0
		.amdhsa_exception_int_div_zero 0
	.end_amdhsa_kernel
	.section	.text._ZN2at6native12_GLOBAL__N_143conv_depthwise3d_cuda_backward_input_kernelIffLi3ELi3ELi3ELi1ELi1ELi1ELin1ELin1ELin1EEEvN5torch10headeronly6detail27GenericPackedTensorAccessorINS5_14TensorAccessorIN3c108ArrayRefIlEEKT_Lm4ENS4_16DefaultPtrTraitsEiEENS_6detail16IndexBoundsCheckILm5EiEESC_Lm5ESD_iEENS6_INS7_ISA_SB_Lm4ESD_iEESH_SB_Lm5ESD_iEESI_iiiiiiiii,"axG",@progbits,_ZN2at6native12_GLOBAL__N_143conv_depthwise3d_cuda_backward_input_kernelIffLi3ELi3ELi3ELi1ELi1ELi1ELin1ELin1ELin1EEEvN5torch10headeronly6detail27GenericPackedTensorAccessorINS5_14TensorAccessorIN3c108ArrayRefIlEEKT_Lm4ENS4_16DefaultPtrTraitsEiEENS_6detail16IndexBoundsCheckILm5EiEESC_Lm5ESD_iEENS6_INS7_ISA_SB_Lm4ESD_iEESH_SB_Lm5ESD_iEESI_iiiiiiiii,comdat
.Lfunc_end18:
	.size	_ZN2at6native12_GLOBAL__N_143conv_depthwise3d_cuda_backward_input_kernelIffLi3ELi3ELi3ELi1ELi1ELi1ELin1ELin1ELin1EEEvN5torch10headeronly6detail27GenericPackedTensorAccessorINS5_14TensorAccessorIN3c108ArrayRefIlEEKT_Lm4ENS4_16DefaultPtrTraitsEiEENS_6detail16IndexBoundsCheckILm5EiEESC_Lm5ESD_iEENS6_INS7_ISA_SB_Lm4ESD_iEESH_SB_Lm5ESD_iEESI_iiiiiiiii, .Lfunc_end18-_ZN2at6native12_GLOBAL__N_143conv_depthwise3d_cuda_backward_input_kernelIffLi3ELi3ELi3ELi1ELi1ELi1ELin1ELin1ELin1EEEvN5torch10headeronly6detail27GenericPackedTensorAccessorINS5_14TensorAccessorIN3c108ArrayRefIlEEKT_Lm4ENS4_16DefaultPtrTraitsEiEENS_6detail16IndexBoundsCheckILm5EiEESC_Lm5ESD_iEENS6_INS7_ISA_SB_Lm4ESD_iEESH_SB_Lm5ESD_iEESI_iiiiiiiii
                                        ; -- End function
	.section	.AMDGPU.csdata,"",@progbits
; Kernel info:
; codeLenInByte = 6660
; NumSgprs: 104
; NumVgprs: 128
; NumAgprs: 0
; TotalNumVgprs: 128
; ScratchSize: 20
; MemoryBound: 0
; FloatMode: 240
; IeeeMode: 1
; LDSByteSize: 0 bytes/workgroup (compile time only)
; SGPRBlocks: 12
; VGPRBlocks: 15
; NumSGPRsForWavesPerEU: 104
; NumVGPRsForWavesPerEU: 128
; AccumOffset: 128
; Occupancy: 4
; WaveLimiterHint : 0
; COMPUTE_PGM_RSRC2:SCRATCH_EN: 1
; COMPUTE_PGM_RSRC2:USER_SGPR: 6
; COMPUTE_PGM_RSRC2:TRAP_HANDLER: 0
; COMPUTE_PGM_RSRC2:TGID_X_EN: 1
; COMPUTE_PGM_RSRC2:TGID_Y_EN: 0
; COMPUTE_PGM_RSRC2:TGID_Z_EN: 0
; COMPUTE_PGM_RSRC2:TIDIG_COMP_CNT: 0
; COMPUTE_PGM_RSRC3_GFX90A:ACCUM_OFFSET: 31
; COMPUTE_PGM_RSRC3_GFX90A:TG_SPLIT: 0
	.section	.text._ZN2at6native12_GLOBAL__N_143conv_depthwise3d_cuda_backward_input_kernelIffLi3ELi3ELi3ELin1ELin1ELin1ELi1ELi1ELi1EEEvN5torch10headeronly6detail27GenericPackedTensorAccessorINS5_14TensorAccessorIN3c108ArrayRefIlEEKT_Lm4ENS4_16DefaultPtrTraitsEiEENS_6detail16IndexBoundsCheckILm5EiEESC_Lm5ESD_iEENS6_INS7_ISA_SB_Lm4ESD_iEESH_SB_Lm5ESD_iEESI_iiiiiiiii,"axG",@progbits,_ZN2at6native12_GLOBAL__N_143conv_depthwise3d_cuda_backward_input_kernelIffLi3ELi3ELi3ELin1ELin1ELin1ELi1ELi1ELi1EEEvN5torch10headeronly6detail27GenericPackedTensorAccessorINS5_14TensorAccessorIN3c108ArrayRefIlEEKT_Lm4ENS4_16DefaultPtrTraitsEiEENS_6detail16IndexBoundsCheckILm5EiEESC_Lm5ESD_iEENS6_INS7_ISA_SB_Lm4ESD_iEESH_SB_Lm5ESD_iEESI_iiiiiiiii,comdat
	.globl	_ZN2at6native12_GLOBAL__N_143conv_depthwise3d_cuda_backward_input_kernelIffLi3ELi3ELi3ELin1ELin1ELin1ELi1ELi1ELi1EEEvN5torch10headeronly6detail27GenericPackedTensorAccessorINS5_14TensorAccessorIN3c108ArrayRefIlEEKT_Lm4ENS4_16DefaultPtrTraitsEiEENS_6detail16IndexBoundsCheckILm5EiEESC_Lm5ESD_iEENS6_INS7_ISA_SB_Lm4ESD_iEESH_SB_Lm5ESD_iEESI_iiiiiiiii ; -- Begin function _ZN2at6native12_GLOBAL__N_143conv_depthwise3d_cuda_backward_input_kernelIffLi3ELi3ELi3ELin1ELin1ELin1ELi1ELi1ELi1EEEvN5torch10headeronly6detail27GenericPackedTensorAccessorINS5_14TensorAccessorIN3c108ArrayRefIlEEKT_Lm4ENS4_16DefaultPtrTraitsEiEENS_6detail16IndexBoundsCheckILm5EiEESC_Lm5ESD_iEENS6_INS7_ISA_SB_Lm4ESD_iEESH_SB_Lm5ESD_iEESI_iiiiiiiii
	.p2align	8
	.type	_ZN2at6native12_GLOBAL__N_143conv_depthwise3d_cuda_backward_input_kernelIffLi3ELi3ELi3ELin1ELin1ELin1ELi1ELi1ELi1EEEvN5torch10headeronly6detail27GenericPackedTensorAccessorINS5_14TensorAccessorIN3c108ArrayRefIlEEKT_Lm4ENS4_16DefaultPtrTraitsEiEENS_6detail16IndexBoundsCheckILm5EiEESC_Lm5ESD_iEENS6_INS7_ISA_SB_Lm4ESD_iEESH_SB_Lm5ESD_iEESI_iiiiiiiii,@function
_ZN2at6native12_GLOBAL__N_143conv_depthwise3d_cuda_backward_input_kernelIffLi3ELi3ELi3ELin1ELin1ELin1ELi1ELi1ELi1EEEvN5torch10headeronly6detail27GenericPackedTensorAccessorINS5_14TensorAccessorIN3c108ArrayRefIlEEKT_Lm4ENS4_16DefaultPtrTraitsEiEENS_6detail16IndexBoundsCheckILm5EiEESC_Lm5ESD_iEENS6_INS7_ISA_SB_Lm4ESD_iEESH_SB_Lm5ESD_iEESI_iiiiiiiii: ; @_ZN2at6native12_GLOBAL__N_143conv_depthwise3d_cuda_backward_input_kernelIffLi3ELi3ELi3ELin1ELin1ELin1ELi1ELi1ELi1EEEvN5torch10headeronly6detail27GenericPackedTensorAccessorINS5_14TensorAccessorIN3c108ArrayRefIlEEKT_Lm4ENS4_16DefaultPtrTraitsEiEENS_6detail16IndexBoundsCheckILm5EiEESC_Lm5ESD_iEENS6_INS7_ISA_SB_Lm4ESD_iEESH_SB_Lm5ESD_iEESI_iiiiiiiii
; %bb.0:
	s_load_dwordx4 s[16:19], s[4:5], 0x38
	s_load_dwordx2 s[26:27], s[4:5], 0x48
	s_mov_b64 s[98:99], s[2:3]
	s_mov_b64 s[96:97], s[0:1]
	s_add_u32 s96, s96, s7
	s_addc_u32 s97, s97, 0
	s_waitcnt lgkmcnt(0)
	s_abs_i32 s33, s17
	v_cvt_f32_u32_e32 v2, s33
	s_load_dword s2, s[4:5], 0xc4
	s_add_u32 s0, s4, 0xb8
	v_mov_b32_e32 v1, 0
	v_rcp_iflag_f32_e32 v2, v2
	v_mov_b32_e32 v3, s6
	s_mul_i32 s34, s27, s16
	s_addc_u32 s1, s5, 0
	v_mul_f32_e32 v2, 0x4f7ffffe, v2
	v_cvt_u32_f32_e32 v2, v2
	s_waitcnt lgkmcnt(0)
	s_and_b32 s2, s2, 0xffff
	s_ashr_i32 s35, s34, 31
	v_mad_u64_u32 v[0:1], s[6:7], s2, v3, v[0:1]
	v_readfirstlane_b32 s3, v2
	v_cmp_gt_i64_e32 vcc, s[34:35], v[0:1]
	s_and_saveexec_b64 s[6:7], vcc
	s_cbranch_execz .LBB19_60
; %bb.1:
	s_load_dwordx4 s[20:23], s[4:5], 0xc
	s_load_dwordx2 s[6:7], s[4:5], 0x0
	s_sub_i32 s8, 0, s33
                                        ; implicit-def: $vgpr127 : SGPR spill to VGPR lane
	s_mul_i32 s9, s8, s3
	s_mul_hi_u32 s9, s3, s9
	s_add_i32 s3, s3, s9
	s_waitcnt lgkmcnt(0)
	v_writelane_b32 v127, s6, 0
	v_writelane_b32 v127, s7, 1
	s_abs_i32 s7, s20
	s_mul_hi_u32 s3, s7, s3
	s_mul_i32 s9, s3, s33
	s_ashr_i32 s16, s17, 31
	s_ashr_i32 s6, s20, 31
	s_sub_i32 s7, s7, s9
	s_xor_b32 s6, s6, s16
	s_add_i32 s9, s3, 1
	s_sub_i32 s10, s7, s33
	s_cmp_ge_u32 s7, s33
	s_cselect_b32 s3, s9, s3
	s_cselect_b32 s7, s10, s7
	s_add_i32 s9, s3, 1
	s_cmp_ge_u32 s7, s33
	s_cselect_b32 s3, s9, s3
	s_xor_b32 s3, s3, s6
	s_sub_i32 s20, s3, s6
	s_load_dword s3, s[0:1], 0x0
	s_load_dwordx4 s[44:47], s[4:5], 0x9c
	s_load_dword s6, s[4:5], 0x7c
	s_abs_i32 s95, s26
	v_cvt_f32_u32_e32 v3, s95
                                        ; kill: killed $sgpr0 killed $sgpr1
	s_load_dwordx2 s[0:1], s[4:5], 0x60
	s_load_dwordx4 s[28:31], s[4:5], 0x50
	s_waitcnt lgkmcnt(0)
	v_writelane_b32 v127, s6, 2
	s_load_dwordx2 s[40:41], s[4:5], 0x1c
	s_load_dwordx2 s[6:7], s[4:5], 0x30
	v_rcp_iflag_f32_e32 v3, v3
	s_load_dwordx2 s[12:13], s[4:5], 0xac
	s_abs_i32 s94, s19
	v_cvt_f32_u32_e32 v4, s94
	s_waitcnt lgkmcnt(0)
	v_writelane_b32 v127, s6, 3
	v_writelane_b32 v127, s7, 4
	v_mul_f32_e32 v3, 0x4f7ffffe, v3
	v_writelane_b32 v127, s0, 5
	v_cvt_u32_f32_e32 v3, v3
	v_writelane_b32 v127, s1, 6
	s_mul_i32 s0, s3, s2
	v_writelane_b32 v127, s0, 7
	s_lshl_b32 s0, s13, 1
	v_writelane_b32 v127, s0, 8
	s_sub_i32 s0, 0, s95
	v_mul_lo_u32 v5, s0, v3
	v_mul_hi_u32 v5, v3, v5
	v_add_u32_e32 v3, v3, v5
	s_abs_i32 s38, s18
	buffer_store_dword v3, off, s[96:99], 0 ; 4-byte Folded Spill
	v_cvt_f32_u32_e32 v3, s38
	v_rcp_iflag_f32_e32 v4, v4
	s_sub_i32 s0, 0, s94
	v_writelane_b32 v127, s12, 9
	v_rcp_iflag_f32_e32 v3, v3
	v_mul_f32_e32 v4, 0x4f7ffffe, v4
	v_cvt_u32_f32_e32 v4, v4
	v_writelane_b32 v127, s13, 10
	v_mul_f32_e32 v3, 0x4f7ffffe, v3
	v_cvt_u32_f32_e32 v3, v3
	v_mul_lo_u32 v5, s0, v4
	v_mul_hi_u32 v5, v4, v5
	v_add_u32_e32 v4, v4, v5
	s_sub_i32 s0, 0, s38
	buffer_store_dword v4, off, s[96:99], 0 offset:4 ; 4-byte Folded Spill
	v_mul_lo_u32 v4, s0, v3
	v_writelane_b32 v127, s44, 11
	v_mul_hi_u32 v4, v3, v4
	v_writelane_b32 v127, s45, 12
	v_add_u32_e32 v62, v3, v4
	v_mul_lo_u32 v3, s8, v2
	v_writelane_b32 v127, s46, 13
	v_mul_hi_u32 v3, v2, v3
	s_mov_b32 s24, 0
	s_lshl_b32 s37, s12, 1
	v_writelane_b32 v127, s47, 14
	s_lshl_b32 s44, s47, 1
	s_ashr_i32 s45, s26, 31
	s_ashr_i32 s39, s19, 31
	s_ashr_i32 s36, s18, 31
	v_add_u32_e32 v63, v2, v3
	s_mov_b64 s[46:47], 0
                                        ; kill: killed $sgpr4 killed $sgpr5
	s_branch .LBB19_3
.LBB19_2:                               ;   in Loop: Header=BB19_3 Depth=1
	s_or_b64 exec, exec, s[48:49]
	v_mul_lo_u32 v2, v68, s27
	v_ashrrev_i32_e32 v3, 31, v2
	v_readlane_b32 s0, v127, 3
	v_lshlrev_b64 v[2:3], 2, v[2:3]
	v_readlane_b32 s1, v127, 4
	v_mov_b32_e32 v4, s1
	v_add_co_u32_e32 v5, vcc, s0, v2
	v_mul_lo_u32 v2, s28, v67
	v_addc_co_u32_e32 v4, vcc, v4, v3, vcc
	v_ashrrev_i32_e32 v3, 31, v2
	v_lshlrev_b64 v[2:3], 2, v[2:3]
	v_add_co_u32_e32 v5, vcc, v5, v2
	v_mul_lo_u32 v2, s29, v66
	v_addc_co_u32_e32 v4, vcc, v4, v3, vcc
	v_ashrrev_i32_e32 v3, 31, v2
	v_lshlrev_b64 v[2:3], 2, v[2:3]
	;; [unrolled: 5-line block ×4, first 2 shown]
	v_add_co_u32_e32 v2, vcc, v5, v2
	v_addc_co_u32_e32 v3, vcc, v4, v3, vcc
	v_readlane_b32 s0, v127, 7
	v_mov_b32_e32 v4, s24
	v_add_co_u32_e32 v0, vcc, s0, v0
	v_addc_co_u32_e32 v1, vcc, v1, v4, vcc
	v_cmp_le_i64_e32 vcc, s[34:35], v[0:1]
	s_or_b64 s[46:47], vcc, s[46:47]
	global_store_dword v[2:3], v71, off
	s_andn2_b64 exec, exec, s[46:47]
	s_cbranch_execz .LBB19_60
.LBB19_3:                               ; =>This Loop Header: Depth=1
                                        ;     Child Loop BB19_6 Depth 2
	buffer_load_dword v4, off, s[96:99], 0  ; 4-byte Folded Reload
	v_sub_u32_e32 v3, 0, v0
	v_max_i32_e32 v3, v0, v3
	v_ashrrev_i32_e32 v2, 31, v0
	v_xor_b32_e32 v2, s45, v2
	v_mov_b32_e32 v71, 0
	s_waitcnt vmcnt(0)
	v_mul_hi_u32 v4, v3, v4
	v_mul_lo_u32 v5, v4, s95
	v_sub_u32_e32 v3, v3, v5
	v_add_u32_e32 v5, 1, v4
	v_cmp_le_u32_e32 vcc, s95, v3
	v_cndmask_b32_e32 v4, v4, v5, vcc
	v_subrev_u32_e32 v5, s95, v3
	v_cndmask_b32_e32 v3, v3, v5, vcc
	v_add_u32_e32 v5, 1, v4
	v_cmp_le_u32_e32 vcc, s95, v3
	v_cndmask_b32_e32 v3, v4, v5, vcc
	buffer_load_dword v5, off, s[96:99], 0 offset:4 ; 4-byte Folded Reload
	v_xor_b32_e32 v3, v3, v2
	v_sub_u32_e32 v2, v3, v2
	v_sub_u32_e32 v4, 0, v2
	v_max_i32_e32 v4, v2, v4
	v_mul_lo_u32 v3, v2, s26
	v_sub_u32_e32 v64, v0, v3
	v_ashrrev_i32_e32 v3, 31, v2
	v_xor_b32_e32 v3, s39, v3
	s_waitcnt vmcnt(0)
	v_mul_hi_u32 v5, v4, v5
	v_mul_lo_u32 v6, v5, s94
	v_sub_u32_e32 v4, v4, v6
	v_add_u32_e32 v6, 1, v5
	v_cmp_le_u32_e32 vcc, s94, v4
	v_cndmask_b32_e32 v5, v5, v6, vcc
	v_subrev_u32_e32 v6, s94, v4
	v_cndmask_b32_e32 v4, v4, v6, vcc
	v_add_u32_e32 v6, 1, v5
	v_cmp_le_u32_e32 vcc, s94, v4
	v_cndmask_b32_e32 v4, v5, v6, vcc
	v_xor_b32_e32 v4, v4, v3
	v_sub_u32_e32 v3, v4, v3
	v_mul_lo_u32 v4, v3, s19
	v_sub_u32_e32 v65, v2, v4
	v_sub_u32_e32 v4, 0, v3
	v_max_i32_e32 v4, v3, v4
	v_mul_hi_u32 v5, v4, v62
	v_mul_lo_u32 v6, v5, s38
	v_sub_u32_e32 v4, v4, v6
	v_add_u32_e32 v6, 1, v5
	v_cmp_le_u32_e32 vcc, s38, v4
	v_cndmask_b32_e32 v5, v5, v6, vcc
	v_subrev_u32_e32 v6, s38, v4
	v_cndmask_b32_e32 v4, v4, v6, vcc
	v_ashrrev_i32_e32 v2, 31, v3
	v_add_u32_e32 v6, 1, v5
	v_cmp_le_u32_e32 vcc, s38, v4
	v_xor_b32_e32 v2, s36, v2
	v_cndmask_b32_e32 v4, v5, v6, vcc
	v_xor_b32_e32 v4, v4, v2
	v_sub_u32_e32 v2, v4, v2
	v_mul_lo_u32 v4, v2, s18
	v_sub_u32_e32 v66, v3, v4
	v_sub_u32_e32 v4, 0, v2
	v_max_i32_e32 v4, v2, v4
	v_mul_hi_u32 v5, v4, v63
	v_mul_lo_u32 v6, v5, s33
	v_sub_u32_e32 v4, v4, v6
	v_add_u32_e32 v6, 1, v5
	v_cmp_le_u32_e32 vcc, s33, v4
	v_cndmask_b32_e32 v5, v5, v6, vcc
	v_subrev_u32_e32 v6, s33, v4
	v_cndmask_b32_e32 v4, v4, v6, vcc
	v_ashrrev_i32_e32 v3, 31, v2
	v_add_u32_e32 v6, 1, v5
	v_cmp_le_u32_e32 vcc, s33, v4
	v_xor_b32_e32 v3, s16, v3
	v_cndmask_b32_e32 v4, v5, v6, vcc
	v_xor_b32_e32 v4, v4, v3
	v_sub_u32_e32 v68, v4, v3
	v_mul_lo_u32 v3, v68, s17
	v_sub_u32_e32 v67, v2, v3
	v_mul_lo_u32 v2, v67, s20
	v_add_u32_e32 v3, s20, v2
	v_cmp_lt_i32_e32 vcc, v2, v3
	s_and_saveexec_b64 s[48:49], vcc
	s_cbranch_execz .LBB19_2
; %bb.4:                                ;   in Loop: Header=BB19_3 Depth=1
	v_readlane_b32 s0, v127, 2
	v_mul_lo_u32 v2, s0, v2
	v_ashrrev_i32_e32 v3, 31, v2
	v_readlane_b32 s0, v127, 5
	v_lshlrev_b64 v[2:3], 2, v[2:3]
	v_readlane_b32 s1, v127, 6
	v_mov_b32_e32 v6, s1
	v_add_co_u32_e32 v2, vcc, s0, v2
	v_readlane_b32 s4, v127, 11
	v_addc_co_u32_e32 v3, vcc, v6, v3, vcc
	v_mul_lo_u32 v6, s40, v68
	v_readlane_b32 s5, v127, 12
	v_readlane_b32 s6, v127, 13
	v_ashrrev_i32_e32 v7, 31, v6
	v_readlane_b32 s0, v127, 0
	v_readlane_b32 s7, v127, 14
	v_add_u32_e32 v10, s4, v66
	v_add_u32_e32 v5, s5, v65
	;; [unrolled: 1-line block ×3, first 2 shown]
	v_lshlrev_b64 v[6:7], 2, v[6:7]
	v_readlane_b32 s1, v127, 1
	v_mov_b32_e32 v8, s1
	v_add_co_u32_e32 v69, vcc, s0, v6
	v_readlane_b32 s2, v127, 9
	v_or_b32_e32 v6, v4, v5
	v_subrev_u32_e32 v9, s44, v10
	v_subrev_u32_e32 v12, s7, v10
	v_addc_co_u32_e32 v70, vcc, v8, v7, vcc
	v_readlane_b32 s3, v127, 10
	v_or_b32_e32 v15, v6, v9
	v_or_b32_e32 v16, v6, v12
	v_or_b32_e32 v6, v6, v10
	v_cmp_lt_i32_e64 s[0:1], -1, v6
	v_cmp_gt_i32_e32 vcc, s23, v4
	v_subrev_u32_e32 v6, s3, v4
	v_cmp_gt_i32_e64 s[8:9], s22, v5
	s_and_b64 s[0:1], vcc, s[0:1]
	v_or_b32_e32 v7, v6, v5
	v_cmp_gt_i32_e64 s[10:11], s21, v10
	s_and_b64 s[0:1], s[0:1], s[8:9]
	v_or_b32_e32 v19, v7, v9
	v_or_b32_e32 v20, v7, v12
	;; [unrolled: 1-line block ×3, first 2 shown]
	v_subrev_u32_e32 v11, s2, v5
	s_and_b64 s[50:51], s[0:1], s[10:11]
	v_cmp_lt_i32_e64 s[2:3], -1, v7
	v_cmp_gt_i32_e64 s[0:1], s23, v6
	s_and_b64 s[2:3], s[0:1], s[2:3]
	s_and_b64 s[2:3], s[2:3], s[8:9]
	;; [unrolled: 1-line block ×3, first 2 shown]
	v_readlane_b32 s2, v127, 8
	v_subrev_u32_e32 v7, s2, v4
	v_or_b32_e32 v23, v7, v5
	v_or_b32_e32 v24, v23, v9
	;; [unrolled: 1-line block ×5, first 2 shown]
	v_cmp_lt_i32_e64 s[4:5], -1, v23
	v_cmp_gt_i32_e64 s[2:3], s23, v7
	s_and_b64 s[4:5], s[2:3], s[4:5]
	v_or_b32_e32 v23, v14, v9
	v_or_b32_e32 v26, v14, v12
	;; [unrolled: 1-line block ×3, first 2 shown]
	s_and_b64 s[4:5], s[4:5], s[8:9]
	v_cmp_lt_i32_e64 s[6:7], -1, v14
	v_or_b32_e32 v18, v6, v11
	s_and_b64 s[54:55], s[4:5], s[10:11]
	v_cmp_gt_i32_e64 s[4:5], s22, v11
	s_and_b64 s[6:7], vcc, s[6:7]
	s_and_b64 s[6:7], s[6:7], s[4:5]
	v_or_b32_e32 v14, v18, v9
	v_or_b32_e32 v27, v18, v12
	;; [unrolled: 1-line block ×3, first 2 shown]
	s_and_b64 s[56:57], s[6:7], s[10:11]
	v_cmp_lt_i32_e64 s[6:7], -1, v18
	v_or_b32_e32 v22, v7, v11
	s_and_b64 s[6:7], s[0:1], s[6:7]
	v_subrev_u32_e32 v8, s37, v5
	s_and_b64 s[6:7], s[6:7], s[4:5]
	v_or_b32_e32 v18, v22, v9
	v_or_b32_e32 v28, v22, v12
	;; [unrolled: 1-line block ×4, first 2 shown]
	s_and_b64 s[58:59], s[6:7], s[10:11]
	v_cmp_lt_i32_e64 s[6:7], -1, v22
	s_and_b64 s[6:7], s[2:3], s[6:7]
	v_or_b32_e32 v29, v13, v10
	s_and_b64 s[6:7], s[6:7], s[4:5]
	v_cmp_lt_i32_e64 s[12:13], -1, v29
	v_or_b32_e32 v17, v6, v8
	s_and_b64 s[60:61], s[6:7], s[10:11]
	v_cmp_gt_i32_e64 s[6:7], s22, v8
	s_and_b64 s[12:13], vcc, s[12:13]
	s_and_b64 s[12:13], s[12:13], s[6:7]
	v_or_b32_e32 v30, v17, v10
	s_and_b64 s[62:63], s[12:13], s[10:11]
	v_cmp_lt_i32_e64 s[12:13], -1, v30
	v_or_b32_e32 v21, v7, v8
	s_and_b64 s[12:13], s[0:1], s[12:13]
	s_and_b64 s[12:13], s[12:13], s[6:7]
	v_or_b32_e32 v31, v21, v10
	s_and_b64 s[64:65], s[12:13], s[10:11]
	v_cmp_lt_i32_e64 s[12:13], -1, v31
	s_and_b64 s[12:13], s[2:3], s[12:13]
	s_and_b64 s[12:13], s[12:13], s[6:7]
	;; [unrolled: 1-line block ×3, first 2 shown]
	v_cmp_lt_i32_e64 s[12:13], -1, v16
	s_and_b64 s[82:83], vcc, s[8:9]
	v_cmp_gt_i32_e64 s[10:11], s21, v12
	s_and_b64 s[12:13], s[82:83], s[12:13]
	s_and_b64 s[68:69], s[12:13], s[10:11]
	v_cmp_lt_i32_e64 s[12:13], -1, v20
	s_and_b64 s[84:85], s[0:1], s[8:9]
	s_and_b64 s[12:13], s[84:85], s[12:13]
	;; [unrolled: 1-line block ×3, first 2 shown]
	v_cmp_lt_i32_e64 s[12:13], -1, v25
	s_and_b64 s[86:87], s[2:3], s[8:9]
	s_and_b64 s[8:9], s[86:87], s[12:13]
	;; [unrolled: 1-line block ×3, first 2 shown]
	v_cmp_lt_i32_e64 s[8:9], -1, v26
	s_and_b64 s[8:9], vcc, s[8:9]
	s_and_b64 s[8:9], s[8:9], s[4:5]
	s_and_b64 s[72:73], s[8:9], s[10:11]
	v_cmp_lt_i32_e64 s[8:9], -1, v27
	s_and_b64 s[8:9], s[0:1], s[8:9]
	s_and_b64 s[8:9], s[8:9], s[4:5]
	;; [unrolled: 1-line block ×3, first 2 shown]
	v_cmp_lt_i32_e64 s[8:9], -1, v28
	s_and_b64 s[8:9], s[2:3], s[8:9]
	v_or_b32_e32 v22, v13, v12
	s_and_b64 s[8:9], s[8:9], s[4:5]
	s_and_b64 s[76:77], s[8:9], s[10:11]
	v_cmp_lt_i32_e64 s[8:9], -1, v22
	s_and_b64 s[8:9], vcc, s[8:9]
	v_or_b32_e32 v29, v17, v12
	s_and_b64 s[8:9], s[8:9], s[6:7]
	s_and_b64 s[78:79], s[8:9], s[10:11]
	v_cmp_lt_i32_e64 s[8:9], -1, v29
	s_and_b64 s[8:9], s[0:1], s[8:9]
	v_or_b32_e32 v30, v21, v12
	s_and_b64 s[8:9], s[8:9], s[6:7]
	s_and_b64 s[80:81], s[8:9], s[10:11]
	v_cmp_lt_i32_e64 s[8:9], -1, v30
	s_and_b64 s[8:9], s[2:3], s[8:9]
	s_and_b64 s[8:9], s[8:9], s[6:7]
	;; [unrolled: 1-line block ×3, first 2 shown]
	v_cmp_lt_i32_e64 s[8:9], -1, v15
	s_and_b64 s[82:83], s[82:83], s[8:9]
	v_cmp_lt_i32_e64 s[8:9], -1, v19
	s_and_b64 s[84:85], s[84:85], s[8:9]
	;; [unrolled: 2-line block ×3, first 2 shown]
	v_cmp_lt_i32_e64 s[8:9], -1, v23
	s_and_b64 s[8:9], vcc, s[8:9]
	s_and_b64 s[88:89], s[8:9], s[4:5]
	v_cmp_lt_i32_e64 s[8:9], -1, v14
	s_and_b64 s[8:9], s[0:1], s[8:9]
	s_and_b64 s[90:91], s[8:9], s[4:5]
	v_cmp_lt_i32_e64 s[8:9], -1, v18
	s_and_b64 s[8:9], s[2:3], s[8:9]
	v_or_b32_e32 v13, v13, v9
	s_and_b64 s[92:93], s[8:9], s[4:5]
	v_cmp_lt_i32_e64 s[4:5], -1, v13
	v_or_b32_e32 v13, v17, v9
	s_and_b64 s[4:5], vcc, s[4:5]
	v_cmp_lt_i32_e32 vcc, -1, v13
	v_or_b32_e32 v13, v21, v9
	s_and_b64 s[0:1], s[0:1], vcc
	v_cmp_lt_i32_e32 vcc, -1, v13
	v_mul_lo_u32 v13, v10, s22
	v_add_u32_e32 v10, v5, v13
	v_mul_lo_u32 v15, v10, s23
	v_add_u32_e32 v10, v4, v15
	v_add_u32_e32 v14, v6, v15
	;; [unrolled: 1-line block ×5, first 2 shown]
	v_mul_lo_u32 v13, v13, s23
	v_mul_lo_u32 v12, v12, s22
	v_add_u32_e32 v24, v4, v13
	v_add_u32_e32 v26, v6, v13
	;; [unrolled: 1-line block ×4, first 2 shown]
	v_mul_lo_u32 v13, v13, s23
	v_add_u32_e32 v30, v4, v13
	v_add_u32_e32 v32, v6, v13
	;; [unrolled: 1-line block ×5, first 2 shown]
	v_mul_lo_u32 v12, v12, s23
	v_add_u32_e32 v42, v4, v12
	v_add_u32_e32 v44, v6, v12
	;; [unrolled: 1-line block ×3, first 2 shown]
	v_mul_lo_u32 v12, v9, s22
	v_add_u32_e32 v5, v5, v12
	v_mul_lo_u32 v5, v5, s23
	v_add_u32_e32 v48, v4, v5
	v_add_u32_e32 v50, v6, v5
	;; [unrolled: 1-line block ×5, first 2 shown]
	v_mul_lo_u32 v15, v15, s23
	v_mul_lo_u32 v13, v13, s23
	;; [unrolled: 1-line block ×4, first 2 shown]
	s_and_b64 s[2:3], s[2:3], vcc
	s_and_b64 s[14:15], s[0:1], s[6:7]
	v_add_u32_e32 v18, v4, v15
	v_add_u32_e32 v20, v6, v15
	;; [unrolled: 1-line block ×9, first 2 shown]
	v_cmp_gt_i32_e32 vcc, s21, v9
	v_add_u32_e32 v72, v4, v5
	v_add_u32_e32 v74, v6, v8
	;; [unrolled: 1-line block ×3, first 2 shown]
	s_and_b64 s[42:43], s[4:5], s[6:7]
	s_and_b64 s[24:25], s[2:3], s[6:7]
	v_ashrrev_i32_e32 v11, 31, v10
	v_ashrrev_i32_e32 v15, 31, v14
	;; [unrolled: 1-line block ×20, first 2 shown]
	s_and_b64 s[4:5], s[86:87], vcc
	v_ashrrev_i32_e32 v53, 31, v52
	v_ashrrev_i32_e32 v73, 31, v72
	;; [unrolled: 1-line block ×5, first 2 shown]
	s_and_b64 s[86:87], s[14:15], vcc
	v_ashrrev_i32_e32 v75, 31, v74
	v_ashrrev_i32_e32 v77, 31, v76
	s_mul_i32 s14, s41, s20
	s_and_b64 s[0:1], s[82:83], vcc
	s_and_b64 s[2:3], s[84:85], vcc
	s_and_b64 s[6:7], s[88:89], vcc
	s_and_b64 s[8:9], s[90:91], vcc
	s_and_b64 s[82:83], s[92:93], vcc
	s_and_b64 s[84:85], s[42:43], vcc
	s_and_b64 s[88:89], s[24:25], vcc
	s_mov_b32 s24, 0
	v_lshlrev_b64 v[4:5], 2, v[10:11]
	v_lshlrev_b64 v[6:7], 2, v[14:15]
	;; [unrolled: 1-line block ×27, first 2 shown]
	s_mov_b32 s92, s20
	v_mov_b32_e32 v71, 0
	v_mul_lo_u32 v58, s14, v67
	s_branch .LBB19_6
.LBB19_5:                               ;   in Loop: Header=BB19_6 Depth=2
	s_or_b64 exec, exec, s[90:91]
	s_waitcnt vmcnt(26)
	v_fmac_f32_e32 v71, v72, v59
	s_waitcnt vmcnt(25)
	v_fmac_f32_e32 v71, v75, v77
	;; [unrolled: 2-line block ×26, first 2 shown]
	v_add_co_u32_e32 v2, vcc, 0x6c, v2
	s_add_i32 s92, s92, -1
	s_waitcnt vmcnt(0)
	v_fmac_f32_e32 v71, v126, v124
	v_addc_co_u32_e32 v3, vcc, 0, v3, vcc
	s_cmp_eq_u32 s92, 0
	v_add_u32_e32 v58, s41, v58
	s_cbranch_scc1 .LBB19_2
.LBB19_6:                               ;   Parent Loop BB19_3 Depth=1
                                        ; =>  This Inner Loop Header: Depth=2
	global_load_dword v72, v[2:3], off
	v_ashrrev_i32_e32 v59, 31, v58
	v_lshlrev_b64 v[74:75], 2, v[58:59]
	v_add_co_u32_e32 v73, vcc, v69, v74
	v_addc_co_u32_e32 v74, vcc, v70, v75, vcc
	v_mov_b32_e32 v59, 0
	s_and_saveexec_b64 s[90:91], s[50:51]
	s_cbranch_execz .LBB19_8
; %bb.7:                                ;   in Loop: Header=BB19_6 Depth=2
	v_add_co_u32_e32 v76, vcc, v73, v4
	v_addc_co_u32_e32 v77, vcc, v74, v5, vcc
	global_load_dword v59, v[76:77], off
.LBB19_8:                               ;   in Loop: Header=BB19_6 Depth=2
	s_or_b64 exec, exec, s[90:91]
	global_load_dword v75, v[2:3], off offset:4
	v_mov_b32_e32 v76, 0
	v_mov_b32_e32 v77, 0
	s_and_saveexec_b64 s[90:91], s[52:53]
	s_cbranch_execz .LBB19_10
; %bb.9:                                ;   in Loop: Header=BB19_6 Depth=2
	v_add_co_u32_e32 v78, vcc, v73, v6
	v_addc_co_u32_e32 v79, vcc, v74, v7, vcc
	global_load_dword v77, v[78:79], off
.LBB19_10:                              ;   in Loop: Header=BB19_6 Depth=2
	s_or_b64 exec, exec, s[90:91]
	global_load_dword v78, v[2:3], off offset:8
	s_and_saveexec_b64 s[90:91], s[54:55]
	s_cbranch_execz .LBB19_12
; %bb.11:                               ;   in Loop: Header=BB19_6 Depth=2
	v_add_co_u32_e32 v80, vcc, v73, v8
	v_addc_co_u32_e32 v81, vcc, v74, v9, vcc
	global_load_dword v76, v[80:81], off
.LBB19_12:                              ;   in Loop: Header=BB19_6 Depth=2
	s_or_b64 exec, exec, s[90:91]
	global_load_dword v79, v[2:3], off offset:12
	v_mov_b32_e32 v80, 0
	v_mov_b32_e32 v81, 0
	s_and_saveexec_b64 s[90:91], s[56:57]
	s_cbranch_execz .LBB19_14
; %bb.13:                               ;   in Loop: Header=BB19_6 Depth=2
	v_add_co_u32_e32 v82, vcc, v73, v10
	v_addc_co_u32_e32 v83, vcc, v74, v11, vcc
	global_load_dword v81, v[82:83], off
.LBB19_14:                              ;   in Loop: Header=BB19_6 Depth=2
	s_or_b64 exec, exec, s[90:91]
	global_load_dword v82, v[2:3], off offset:16
	s_and_saveexec_b64 s[90:91], s[58:59]
	s_cbranch_execz .LBB19_16
; %bb.15:                               ;   in Loop: Header=BB19_6 Depth=2
	v_add_co_u32_e32 v84, vcc, v73, v12
	v_addc_co_u32_e32 v85, vcc, v74, v13, vcc
	global_load_dword v80, v[84:85], off
.LBB19_16:                              ;   in Loop: Header=BB19_6 Depth=2
	s_or_b64 exec, exec, s[90:91]
	global_load_dword v83, v[2:3], off offset:20
	v_mov_b32_e32 v84, 0
	v_mov_b32_e32 v85, 0
	s_and_saveexec_b64 s[90:91], s[60:61]
	s_cbranch_execz .LBB19_18
; %bb.17:                               ;   in Loop: Header=BB19_6 Depth=2
	v_add_co_u32_e32 v86, vcc, v73, v14
	v_addc_co_u32_e32 v87, vcc, v74, v15, vcc
	global_load_dword v85, v[86:87], off
.LBB19_18:                              ;   in Loop: Header=BB19_6 Depth=2
	;; [unrolled: 20-line block ×12, first 2 shown]
	s_or_b64 exec, exec, s[90:91]
	global_load_dword v126, v[2:3], off offset:104
	s_and_saveexec_b64 s[90:91], s[88:89]
	s_cbranch_execz .LBB19_5
; %bb.59:                               ;   in Loop: Header=BB19_6 Depth=2
	v_add_co_u32_e32 v60, vcc, v73, v56
	v_addc_co_u32_e32 v61, vcc, v74, v57, vcc
	global_load_dword v124, v[60:61], off
	s_branch .LBB19_5
.LBB19_60:
	s_endpgm
	.section	.rodata,"a",@progbits
	.p2align	6, 0x0
	.amdhsa_kernel _ZN2at6native12_GLOBAL__N_143conv_depthwise3d_cuda_backward_input_kernelIffLi3ELi3ELi3ELin1ELin1ELin1ELi1ELi1ELi1EEEvN5torch10headeronly6detail27GenericPackedTensorAccessorINS5_14TensorAccessorIN3c108ArrayRefIlEEKT_Lm4ENS4_16DefaultPtrTraitsEiEENS_6detail16IndexBoundsCheckILm5EiEESC_Lm5ESD_iEENS6_INS7_ISA_SB_Lm4ESD_iEESH_SB_Lm5ESD_iEESI_iiiiiiiii
		.amdhsa_group_segment_fixed_size 0
		.amdhsa_private_segment_fixed_size 12
		.amdhsa_kernarg_size 440
		.amdhsa_user_sgpr_count 6
		.amdhsa_user_sgpr_private_segment_buffer 1
		.amdhsa_user_sgpr_dispatch_ptr 0
		.amdhsa_user_sgpr_queue_ptr 0
		.amdhsa_user_sgpr_kernarg_segment_ptr 1
		.amdhsa_user_sgpr_dispatch_id 0
		.amdhsa_user_sgpr_flat_scratch_init 0
		.amdhsa_user_sgpr_kernarg_preload_length 0
		.amdhsa_user_sgpr_kernarg_preload_offset 0
		.amdhsa_user_sgpr_private_segment_size 0
		.amdhsa_uses_dynamic_stack 0
		.amdhsa_system_sgpr_private_segment_wavefront_offset 1
		.amdhsa_system_sgpr_workgroup_id_x 1
		.amdhsa_system_sgpr_workgroup_id_y 0
		.amdhsa_system_sgpr_workgroup_id_z 0
		.amdhsa_system_sgpr_workgroup_info 0
		.amdhsa_system_vgpr_workitem_id 0
		.amdhsa_next_free_vgpr 128
		.amdhsa_next_free_sgpr 100
		.amdhsa_accum_offset 128
		.amdhsa_reserve_vcc 1
		.amdhsa_reserve_flat_scratch 0
		.amdhsa_float_round_mode_32 0
		.amdhsa_float_round_mode_16_64 0
		.amdhsa_float_denorm_mode_32 3
		.amdhsa_float_denorm_mode_16_64 3
		.amdhsa_dx10_clamp 1
		.amdhsa_ieee_mode 1
		.amdhsa_fp16_overflow 0
		.amdhsa_tg_split 0
		.amdhsa_exception_fp_ieee_invalid_op 0
		.amdhsa_exception_fp_denorm_src 0
		.amdhsa_exception_fp_ieee_div_zero 0
		.amdhsa_exception_fp_ieee_overflow 0
		.amdhsa_exception_fp_ieee_underflow 0
		.amdhsa_exception_fp_ieee_inexact 0
		.amdhsa_exception_int_div_zero 0
	.end_amdhsa_kernel
	.section	.text._ZN2at6native12_GLOBAL__N_143conv_depthwise3d_cuda_backward_input_kernelIffLi3ELi3ELi3ELin1ELin1ELin1ELi1ELi1ELi1EEEvN5torch10headeronly6detail27GenericPackedTensorAccessorINS5_14TensorAccessorIN3c108ArrayRefIlEEKT_Lm4ENS4_16DefaultPtrTraitsEiEENS_6detail16IndexBoundsCheckILm5EiEESC_Lm5ESD_iEENS6_INS7_ISA_SB_Lm4ESD_iEESH_SB_Lm5ESD_iEESI_iiiiiiiii,"axG",@progbits,_ZN2at6native12_GLOBAL__N_143conv_depthwise3d_cuda_backward_input_kernelIffLi3ELi3ELi3ELin1ELin1ELin1ELi1ELi1ELi1EEEvN5torch10headeronly6detail27GenericPackedTensorAccessorINS5_14TensorAccessorIN3c108ArrayRefIlEEKT_Lm4ENS4_16DefaultPtrTraitsEiEENS_6detail16IndexBoundsCheckILm5EiEESC_Lm5ESD_iEENS6_INS7_ISA_SB_Lm4ESD_iEESH_SB_Lm5ESD_iEESI_iiiiiiiii,comdat
.Lfunc_end19:
	.size	_ZN2at6native12_GLOBAL__N_143conv_depthwise3d_cuda_backward_input_kernelIffLi3ELi3ELi3ELin1ELin1ELin1ELi1ELi1ELi1EEEvN5torch10headeronly6detail27GenericPackedTensorAccessorINS5_14TensorAccessorIN3c108ArrayRefIlEEKT_Lm4ENS4_16DefaultPtrTraitsEiEENS_6detail16IndexBoundsCheckILm5EiEESC_Lm5ESD_iEENS6_INS7_ISA_SB_Lm4ESD_iEESH_SB_Lm5ESD_iEESI_iiiiiiiii, .Lfunc_end19-_ZN2at6native12_GLOBAL__N_143conv_depthwise3d_cuda_backward_input_kernelIffLi3ELi3ELi3ELin1ELin1ELin1ELi1ELi1ELi1EEEvN5torch10headeronly6detail27GenericPackedTensorAccessorINS5_14TensorAccessorIN3c108ArrayRefIlEEKT_Lm4ENS4_16DefaultPtrTraitsEiEENS_6detail16IndexBoundsCheckILm5EiEESC_Lm5ESD_iEENS6_INS7_ISA_SB_Lm4ESD_iEESH_SB_Lm5ESD_iEESI_iiiiiiiii
                                        ; -- End function
	.section	.AMDGPU.csdata,"",@progbits
; Kernel info:
; codeLenInByte = 4128
; NumSgprs: 104
; NumVgprs: 128
; NumAgprs: 0
; TotalNumVgprs: 128
; ScratchSize: 12
; MemoryBound: 0
; FloatMode: 240
; IeeeMode: 1
; LDSByteSize: 0 bytes/workgroup (compile time only)
; SGPRBlocks: 12
; VGPRBlocks: 15
; NumSGPRsForWavesPerEU: 104
; NumVGPRsForWavesPerEU: 128
; AccumOffset: 128
; Occupancy: 4
; WaveLimiterHint : 0
; COMPUTE_PGM_RSRC2:SCRATCH_EN: 1
; COMPUTE_PGM_RSRC2:USER_SGPR: 6
; COMPUTE_PGM_RSRC2:TRAP_HANDLER: 0
; COMPUTE_PGM_RSRC2:TGID_X_EN: 1
; COMPUTE_PGM_RSRC2:TGID_Y_EN: 0
; COMPUTE_PGM_RSRC2:TGID_Z_EN: 0
; COMPUTE_PGM_RSRC2:TIDIG_COMP_CNT: 0
; COMPUTE_PGM_RSRC3_GFX90A:ACCUM_OFFSET: 31
; COMPUTE_PGM_RSRC3_GFX90A:TG_SPLIT: 0
	.section	.text._ZN2at6native12_GLOBAL__N_143conv_depthwise3d_cuda_backward_input_kernelIffLi3ELi3ELi3ELin1ELin1ELin1ELin1ELin1ELin1EEEvN5torch10headeronly6detail27GenericPackedTensorAccessorINS5_14TensorAccessorIN3c108ArrayRefIlEEKT_Lm4ENS4_16DefaultPtrTraitsEiEENS_6detail16IndexBoundsCheckILm5EiEESC_Lm5ESD_iEENS6_INS7_ISA_SB_Lm4ESD_iEESH_SB_Lm5ESD_iEESI_iiiiiiiii,"axG",@progbits,_ZN2at6native12_GLOBAL__N_143conv_depthwise3d_cuda_backward_input_kernelIffLi3ELi3ELi3ELin1ELin1ELin1ELin1ELin1ELin1EEEvN5torch10headeronly6detail27GenericPackedTensorAccessorINS5_14TensorAccessorIN3c108ArrayRefIlEEKT_Lm4ENS4_16DefaultPtrTraitsEiEENS_6detail16IndexBoundsCheckILm5EiEESC_Lm5ESD_iEENS6_INS7_ISA_SB_Lm4ESD_iEESH_SB_Lm5ESD_iEESI_iiiiiiiii,comdat
	.globl	_ZN2at6native12_GLOBAL__N_143conv_depthwise3d_cuda_backward_input_kernelIffLi3ELi3ELi3ELin1ELin1ELin1ELin1ELin1ELin1EEEvN5torch10headeronly6detail27GenericPackedTensorAccessorINS5_14TensorAccessorIN3c108ArrayRefIlEEKT_Lm4ENS4_16DefaultPtrTraitsEiEENS_6detail16IndexBoundsCheckILm5EiEESC_Lm5ESD_iEENS6_INS7_ISA_SB_Lm4ESD_iEESH_SB_Lm5ESD_iEESI_iiiiiiiii ; -- Begin function _ZN2at6native12_GLOBAL__N_143conv_depthwise3d_cuda_backward_input_kernelIffLi3ELi3ELi3ELin1ELin1ELin1ELin1ELin1ELin1EEEvN5torch10headeronly6detail27GenericPackedTensorAccessorINS5_14TensorAccessorIN3c108ArrayRefIlEEKT_Lm4ENS4_16DefaultPtrTraitsEiEENS_6detail16IndexBoundsCheckILm5EiEESC_Lm5ESD_iEENS6_INS7_ISA_SB_Lm4ESD_iEESH_SB_Lm5ESD_iEESI_iiiiiiiii
	.p2align	8
	.type	_ZN2at6native12_GLOBAL__N_143conv_depthwise3d_cuda_backward_input_kernelIffLi3ELi3ELi3ELin1ELin1ELin1ELin1ELin1ELin1EEEvN5torch10headeronly6detail27GenericPackedTensorAccessorINS5_14TensorAccessorIN3c108ArrayRefIlEEKT_Lm4ENS4_16DefaultPtrTraitsEiEENS_6detail16IndexBoundsCheckILm5EiEESC_Lm5ESD_iEENS6_INS7_ISA_SB_Lm4ESD_iEESH_SB_Lm5ESD_iEESI_iiiiiiiii,@function
_ZN2at6native12_GLOBAL__N_143conv_depthwise3d_cuda_backward_input_kernelIffLi3ELi3ELi3ELin1ELin1ELin1ELin1ELin1ELin1EEEvN5torch10headeronly6detail27GenericPackedTensorAccessorINS5_14TensorAccessorIN3c108ArrayRefIlEEKT_Lm4ENS4_16DefaultPtrTraitsEiEENS_6detail16IndexBoundsCheckILm5EiEESC_Lm5ESD_iEENS6_INS7_ISA_SB_Lm4ESD_iEESH_SB_Lm5ESD_iEESI_iiiiiiiii: ; @_ZN2at6native12_GLOBAL__N_143conv_depthwise3d_cuda_backward_input_kernelIffLi3ELi3ELi3ELin1ELin1ELin1ELin1ELin1ELin1EEEvN5torch10headeronly6detail27GenericPackedTensorAccessorINS5_14TensorAccessorIN3c108ArrayRefIlEEKT_Lm4ENS4_16DefaultPtrTraitsEiEENS_6detail16IndexBoundsCheckILm5EiEESC_Lm5ESD_iEENS6_INS7_ISA_SB_Lm4ESD_iEESH_SB_Lm5ESD_iEESI_iiiiiiiii
; %bb.0:
	s_load_dwordx4 s[8:11], s[4:5], 0x38
	s_load_dwordx2 s[16:17], s[4:5], 0x48
	s_mov_b64 s[98:99], s[2:3]
	s_mov_b64 s[96:97], s[0:1]
	s_add_u32 s96, s96, s7
	s_addc_u32 s97, s97, 0
	s_waitcnt lgkmcnt(0)
	s_abs_i32 s0, s9
	v_cvt_f32_u32_e32 v2, s0
                                        ; implicit-def: $vgpr126 : SGPR spill to VGPR lane
	s_load_dword s2, s[4:5], 0xc4
	v_writelane_b32 v126, s0, 0
	v_writelane_b32 v126, s8, 1
	v_rcp_iflag_f32_e32 v2, v2
	v_writelane_b32 v126, s9, 2
	v_writelane_b32 v126, s10, 3
	;; [unrolled: 1-line block ×3, first 2 shown]
	v_mul_f32_e32 v2, 0x4f7ffffe, v2
	v_cvt_u32_f32_e32 v2, v2
	s_mul_i32 s8, s17, s8
	s_add_u32 s0, s4, 0xb8
	v_mov_b32_e32 v1, 0
	v_mov_b32_e32 v3, s6
	s_addc_u32 s1, s5, 0
	s_waitcnt lgkmcnt(0)
	s_and_b32 s2, s2, 0xffff
	s_ashr_i32 s9, s8, 31
	v_mad_u64_u32 v[0:1], s[6:7], s2, v3, v[0:1]
	v_writelane_b32 v126, s8, 5
	v_readfirstlane_b32 s3, v2
	v_writelane_b32 v126, s9, 6
	v_cmp_gt_i64_e32 vcc, s[8:9], v[0:1]
	s_and_saveexec_b64 s[6:7], vcc
	s_cbranch_execz .LBB20_60
; %bb.1:
	s_load_dwordx2 s[6:7], s[4:5], 0x0
	s_load_dwordx4 s[28:31], s[4:5], 0x50
	s_load_dwordx4 s[8:11], s[4:5], 0xc
	;; [unrolled: 1-line block ×3, first 2 shown]
	s_load_dwordx8 s[20:27], s[4:5], 0x90
	s_waitcnt lgkmcnt(0)
	s_load_dword s12, s[4:5], 0xb0
                                        ; kill: killed $sgpr0 killed $sgpr1
	s_mov_b32 s73, 0
	v_writelane_b32 v126, s6, 7
	v_writelane_b32 v126, s7, 8
	s_ashr_i32 s6, s8, 31
	v_writelane_b32 v126, s8, 9
	v_writelane_b32 v126, s9, 10
	;; [unrolled: 1-line block ×4, first 2 shown]
	v_readlane_b32 s11, v126, 0
	s_abs_i32 s7, s8
	s_sub_i32 s8, 0, s11
	s_mul_i32 s9, s8, s3
	s_mul_hi_u32 s9, s3, s9
	s_add_i32 s3, s3, s9
	s_mul_hi_u32 s3, s7, s3
	s_mul_i32 s9, s3, s11
	s_ashr_i32 s72, s13, 31
	s_sub_i32 s7, s7, s9
	s_xor_b32 s6, s6, s72
	s_add_i32 s9, s3, 1
	s_sub_i32 s10, s7, s11
	s_cmp_ge_u32 s7, s11
	s_cselect_b32 s3, s9, s3
	s_cselect_b32 s7, s10, s7
	s_add_i32 s9, s3, 1
	s_cmp_ge_u32 s7, s11
	s_cselect_b32 s3, s9, s3
	s_xor_b32 s3, s3, s6
	s_sub_i32 s74, s3, s6
	s_load_dword s3, s[0:1], 0x0
	s_load_dword s6, s[4:5], 0x7c
	s_abs_i32 s0, s16
	v_cvt_f32_u32_e32 v3, s0
                                        ; kill: killed $sgpr4 killed $sgpr5
	s_waitcnt lgkmcnt(0)
	s_mul_i32 s1, s3, s2
	v_writelane_b32 v126, s6, 13
	s_load_dwordx2 s[6:7], s[4:5], 0x1c
	s_load_dwordx2 s[10:11], s[4:5], 0x30
	v_rcp_iflag_f32_e32 v3, v3
	s_abs_i32 s2, s14
	s_waitcnt lgkmcnt(0)
	v_writelane_b32 v126, s10, 14
	v_writelane_b32 v126, s11, 15
	s_load_dwordx2 s[10:11], s[4:5], 0x60
	v_mul_f32_e32 v3, 0x4f7ffffe, v3
	v_cvt_u32_f32_e32 v3, v3
	s_mov_b64 s[4:5], 0
	s_waitcnt lgkmcnt(0)
	v_writelane_b32 v126, s10, 16
	v_writelane_b32 v126, s11, 17
	;; [unrolled: 1-line block ×8, first 2 shown]
	s_lshl_b32 s1, s12, 1
	v_writelane_b32 v126, s1, 24
	s_lshl_b32 s1, s27, 1
	v_writelane_b32 v126, s1, 25
	;; [unrolled: 2-line block ×3, first 2 shown]
	s_ashr_i32 s1, s16, 31
	v_writelane_b32 v126, s1, 27
	s_abs_i32 s1, s15
	v_writelane_b32 v126, s0, 28
	s_sub_i32 s0, 0, s0
	v_cvt_f32_u32_e32 v4, s1
	v_mul_lo_u32 v5, s0, v3
	v_mul_hi_u32 v5, v3, v5
	v_add_u32_e32 v3, v3, v5
	buffer_store_dword v3, off, s[96:99], 0 ; 4-byte Folded Spill
	v_cvt_f32_u32_e32 v3, s2
	v_rcp_iflag_f32_e32 v4, v4
	s_ashr_i32 s0, s15, 31
	v_writelane_b32 v126, s0, 29
	v_rcp_iflag_f32_e32 v3, v3
	v_mul_f32_e32 v4, 0x4f7ffffe, v4
	v_cvt_u32_f32_e32 v4, v4
	s_sub_i32 s0, 0, s1
	v_mul_f32_e32 v3, 0x4f7ffffe, v3
	v_cvt_u32_f32_e32 v3, v3
	v_mul_lo_u32 v5, s0, v4
	v_writelane_b32 v126, s1, 30
	v_mul_hi_u32 v5, v4, v5
	s_ashr_i32 s0, s14, 31
	v_add_u32_e32 v4, v4, v5
	v_writelane_b32 v126, s0, 31
	s_sub_i32 s0, 0, s2
	buffer_store_dword v4, off, s[96:99], 0 offset:4 ; 4-byte Folded Spill
	v_mul_lo_u32 v4, s0, v3
	s_abs_i32 s0, s20
	v_cvt_f32_u32_e32 v5, s0
	v_mul_hi_u32 v4, v3, v4
	v_add_u32_e32 v3, v3, v4
	buffer_store_dword v3, off, s[96:99], 0 offset:8 ; 4-byte Folded Spill
	v_rcp_iflag_f32_e32 v4, v5
	v_mul_lo_u32 v3, s8, v2
	v_mul_hi_u32 v3, v2, v3
	v_add_u32_e32 v2, v2, v3
	buffer_store_dword v2, off, s[96:99], 0 offset:12 ; 4-byte Folded Spill
	v_mul_f32_e32 v2, 0x4f7ffffe, v4
	v_writelane_b32 v126, s2, 32
	s_ashr_i32 s1, s20, 31
	v_cvt_u32_f32_e32 v2, v2
	v_writelane_b32 v126, s1, 33
	s_abs_i32 s1, s21
	v_cvt_f32_u32_e32 v3, s1
	v_writelane_b32 v126, s0, 34
	s_sub_i32 s0, 0, s0
	v_mul_lo_u32 v4, s0, v2
	v_mul_hi_u32 v4, v2, v4
	s_abs_i32 s2, s22
	s_ashr_i32 s0, s21, 31
	v_rcp_iflag_f32_e32 v3, v3
	v_add_u32_e32 v64, v2, v4
	v_cvt_f32_u32_e32 v2, s2
	v_writelane_b32 v126, s0, 35
	v_writelane_b32 v126, s1, 36
	;; [unrolled: 1-line block ×4, first 2 shown]
	v_mul_f32_e32 v3, 0x4f7ffffe, v3
	v_rcp_iflag_f32_e32 v2, v2
	v_writelane_b32 v126, s22, 39
	v_cvt_u32_f32_e32 v3, v3
	v_writelane_b32 v126, s23, 40
	v_writelane_b32 v126, s24, 41
	;; [unrolled: 1-line block ×3, first 2 shown]
	s_sub_i32 s0, 0, s1
	v_mul_f32_e32 v2, 0x4f7ffffe, v2
	v_writelane_b32 v126, s26, 43
	v_mul_lo_u32 v4, s0, v3
	v_cvt_u32_f32_e32 v2, v2
	v_writelane_b32 v126, s27, 44
	s_ashr_i32 s0, s22, 31
	v_writelane_b32 v126, s0, 45
	v_writelane_b32 v126, s2, 46
	v_mul_hi_u32 v4, v3, v4
	s_sub_i32 s0, 0, s2
	v_writelane_b32 v126, s6, 47
	v_add_u32_e32 v65, v3, v4
	v_mul_lo_u32 v3, s0, v2
	v_writelane_b32 v126, s7, 48
	s_mul_i32 s0, s7, s74
	v_writelane_b32 v126, s0, 49
	v_mul_hi_u32 v3, v2, v3
	v_writelane_b32 v126, s16, 50
	v_add_u32_e32 v66, v2, v3
	v_writelane_b32 v126, s17, 51
	s_branch .LBB20_3
.LBB20_2:                               ;   in Loop: Header=BB20_3 Depth=1
	v_readlane_b32 s0, v126, 54
	v_readlane_b32 s1, v126, 55
	s_or_b64 exec, exec, s[0:1]
	v_readlane_b32 s16, v126, 50
	v_readlane_b32 s17, v126, 51
	v_mul_lo_u32 v2, v71, s17
	v_ashrrev_i32_e32 v3, 31, v2
	v_readlane_b32 s0, v126, 14
	v_lshlrev_b64 v[2:3], 2, v[2:3]
	v_readlane_b32 s1, v126, 15
	v_mov_b32_e32 v4, s1
	v_add_co_u32_e32 v5, vcc, s0, v2
	v_readlane_b32 s0, v126, 18
	v_mul_lo_u32 v2, s0, v70
	v_addc_co_u32_e32 v4, vcc, v4, v3, vcc
	v_ashrrev_i32_e32 v3, 31, v2
	v_readlane_b32 s1, v126, 19
	v_lshlrev_b64 v[2:3], 2, v[2:3]
	v_add_co_u32_e32 v5, vcc, v5, v2
	v_mul_lo_u32 v2, s1, v69
	v_addc_co_u32_e32 v4, vcc, v4, v3, vcc
	v_ashrrev_i32_e32 v3, 31, v2
	v_readlane_b32 s2, v126, 20
	v_lshlrev_b64 v[2:3], 2, v[2:3]
	v_add_co_u32_e32 v5, vcc, v5, v2
	;; [unrolled: 6-line block ×3, first 2 shown]
	v_mul_lo_u32 v2, s3, v67
	v_addc_co_u32_e32 v4, vcc, v4, v3, vcc
	v_ashrrev_i32_e32 v3, 31, v2
	v_lshlrev_b64 v[2:3], 2, v[2:3]
	v_add_co_u32_e32 v2, vcc, v5, v2
	v_addc_co_u32_e32 v3, vcc, v4, v3, vcc
	v_readlane_b32 s0, v126, 22
	v_mov_b32_e32 v4, s73
	v_add_co_u32_e32 v0, vcc, s0, v0
	v_readlane_b32 s0, v126, 5
	v_readlane_b32 s4, v126, 52
	v_addc_co_u32_e32 v1, vcc, v1, v4, vcc
	v_readlane_b32 s1, v126, 6
	v_readlane_b32 s5, v126, 53
	v_cmp_le_i64_e32 vcc, s[0:1], v[0:1]
	s_or_b64 s[4:5], vcc, s[4:5]
	global_store_dword v[2:3], v74, off
	s_andn2_b64 exec, exec, s[4:5]
	s_cbranch_execz .LBB20_60
.LBB20_3:                               ; =>This Loop Header: Depth=1
                                        ;     Child Loop BB20_6 Depth 2
	buffer_load_dword v4, off, s[96:99], 0  ; 4-byte Folded Reload
	v_writelane_b32 v126, s4, 52
	v_writelane_b32 v126, s5, 53
	v_sub_u32_e32 v3, 0, v0
	v_ashrrev_i32_e32 v2, 31, v0
	v_readlane_b32 s0, v126, 27
	v_max_i32_e32 v3, v0, v3
	v_xor_b32_e32 v2, s0, v2
	v_readlane_b32 s0, v126, 28
	v_mov_b32_e32 v74, 0
	s_waitcnt vmcnt(0)
	v_mul_hi_u32 v4, v3, v4
	v_mul_lo_u32 v5, v4, s0
	v_sub_u32_e32 v3, v3, v5
	v_add_u32_e32 v5, 1, v4
	v_cmp_le_u32_e32 vcc, s0, v3
	v_cndmask_b32_e32 v4, v4, v5, vcc
	v_subrev_u32_e32 v5, s0, v3
	v_cndmask_b32_e32 v3, v3, v5, vcc
	v_add_u32_e32 v5, 1, v4
	v_cmp_le_u32_e32 vcc, s0, v3
	v_cndmask_b32_e32 v3, v4, v5, vcc
	buffer_load_dword v5, off, s[96:99], 0 offset:4 ; 4-byte Folded Reload
	v_xor_b32_e32 v3, v3, v2
	v_sub_u32_e32 v2, v3, v2
	v_mul_lo_u32 v3, v2, s16
	v_sub_u32_e32 v4, 0, v2
	v_sub_u32_e32 v67, v0, v3
	v_ashrrev_i32_e32 v3, 31, v2
	v_readlane_b32 s0, v126, 29
	v_max_i32_e32 v4, v2, v4
	v_xor_b32_e32 v3, s0, v3
	v_readlane_b32 s0, v126, 30
	s_waitcnt vmcnt(0)
	v_mul_hi_u32 v5, v4, v5
	v_mul_lo_u32 v6, v5, s0
	v_sub_u32_e32 v4, v4, v6
	v_add_u32_e32 v6, 1, v5
	v_cmp_le_u32_e32 vcc, s0, v4
	v_cndmask_b32_e32 v5, v5, v6, vcc
	v_subrev_u32_e32 v6, s0, v4
	v_cndmask_b32_e32 v4, v4, v6, vcc
	v_add_u32_e32 v6, 1, v5
	v_cmp_le_u32_e32 vcc, s0, v4
	v_cndmask_b32_e32 v4, v5, v6, vcc
	buffer_load_dword v5, off, s[96:99], 0 offset:8 ; 4-byte Folded Reload
	v_xor_b32_e32 v4, v4, v3
	v_readlane_b32 s0, v126, 1
	v_sub_u32_e32 v3, v4, v3
	v_readlane_b32 s3, v126, 4
	v_mul_lo_u32 v4, v3, s3
	v_sub_u32_e32 v68, v2, v4
	v_sub_u32_e32 v4, 0, v3
	v_ashrrev_i32_e32 v2, 31, v3
	v_readlane_b32 s0, v126, 31
	v_max_i32_e32 v4, v3, v4
	v_xor_b32_e32 v2, s0, v2
	v_readlane_b32 s0, v126, 32
	v_readlane_b32 s2, v126, 3
	;; [unrolled: 1-line block ×3, first 2 shown]
	s_waitcnt vmcnt(0)
	v_mul_hi_u32 v5, v4, v5
	v_mul_lo_u32 v6, v5, s0
	v_sub_u32_e32 v4, v4, v6
	v_add_u32_e32 v6, 1, v5
	v_cmp_le_u32_e32 vcc, s0, v4
	v_cndmask_b32_e32 v5, v5, v6, vcc
	v_subrev_u32_e32 v6, s0, v4
	v_cndmask_b32_e32 v4, v4, v6, vcc
	v_add_u32_e32 v6, 1, v5
	v_cmp_le_u32_e32 vcc, s0, v4
	v_cndmask_b32_e32 v4, v5, v6, vcc
	buffer_load_dword v5, off, s[96:99], 0 offset:12 ; 4-byte Folded Reload
	v_xor_b32_e32 v4, v4, v2
	v_sub_u32_e32 v2, v4, v2
	v_mul_lo_u32 v4, v2, s2
	v_sub_u32_e32 v69, v3, v4
	v_sub_u32_e32 v4, 0, v2
	v_max_i32_e32 v4, v2, v4
	v_readlane_b32 s0, v126, 0
	v_ashrrev_i32_e32 v3, 31, v2
	v_xor_b32_e32 v3, s72, v3
	s_waitcnt vmcnt(0)
	v_mul_hi_u32 v5, v4, v5
	v_mul_lo_u32 v6, v5, s0
	v_sub_u32_e32 v4, v4, v6
	v_add_u32_e32 v6, 1, v5
	v_cmp_le_u32_e32 vcc, s0, v4
	v_cndmask_b32_e32 v5, v5, v6, vcc
	v_subrev_u32_e32 v6, s0, v4
	v_cndmask_b32_e32 v4, v4, v6, vcc
	v_add_u32_e32 v6, 1, v5
	v_cmp_le_u32_e32 vcc, s0, v4
	v_cndmask_b32_e32 v4, v5, v6, vcc
	v_xor_b32_e32 v4, v4, v3
	v_sub_u32_e32 v71, v4, v3
	v_mul_lo_u32 v3, v71, s1
	v_sub_u32_e32 v70, v2, v3
	v_mul_lo_u32 v2, v70, s74
	v_add_u32_e32 v3, s74, v2
	v_cmp_lt_i32_e32 vcc, v2, v3
	s_mov_b64 s[0:1], exec
	v_writelane_b32 v126, s0, 54
	v_writelane_b32 v126, s1, 55
	s_and_b64 s[0:1], s[0:1], vcc
	s_mov_b64 exec, s[0:1]
	s_cbranch_execz .LBB20_2
; %bb.4:                                ;   in Loop: Header=BB20_3 Depth=1
	v_readlane_b32 s0, v126, 13
	v_mul_lo_u32 v2, s0, v2
	v_ashrrev_i32_e32 v3, 31, v2
	v_readlane_b32 s0, v126, 16
	v_lshlrev_b64 v[2:3], 2, v[2:3]
	v_readlane_b32 s1, v126, 17
	v_mov_b32_e32 v4, s1
	v_add_co_u32_e32 v2, vcc, s0, v2
	v_readlane_b32 s0, v126, 47
	v_readlane_b32 s44, v126, 37
	v_mul_lo_u32 v6, s0, v71
	v_readlane_b32 s47, v126, 40
	v_readlane_b32 s1, v126, 48
	v_ashrrev_i32_e32 v7, 31, v6
	v_add_u32_e32 v10, s47, v69
	v_addc_co_u32_e32 v3, vcc, v4, v3, vcc
	v_lshlrev_b64 v[6:7], 2, v[6:7]
	v_readlane_b32 s0, v126, 7
	v_readlane_b32 s1, v126, 8
	v_add_co_u32_e32 v72, vcc, s0, v6
	v_sub_u32_e32 v6, 0, v10
	v_mov_b32_e32 v4, s1
	v_max_i32_e32 v6, v10, v6
	v_addc_co_u32_e32 v73, vcc, v4, v7, vcc
	v_mul_hi_u32 v7, v6, v64
	v_readlane_b32 s1, v126, 34
	v_mul_lo_u32 v8, v7, s1
	v_sub_u32_e32 v6, v6, v8
	v_add_u32_e32 v8, 1, v7
	v_cmp_le_u32_e32 vcc, s1, v6
	v_cndmask_b32_e32 v7, v7, v8, vcc
	v_subrev_u32_e32 v8, s1, v6
	v_cndmask_b32_e32 v6, v6, v8, vcc
	v_ashrrev_i32_e32 v4, 31, v10
	v_readlane_b32 s20, v126, 33
	v_add_u32_e32 v8, 1, v7
	v_cmp_le_u32_e32 vcc, s1, v6
	v_readlane_b32 s48, v126, 41
	v_xor_b32_e32 v4, s20, v4
	v_cndmask_b32_e32 v6, v7, v8, vcc
	v_add_u32_e32 v11, s48, v68
	v_xor_b32_e32 v6, v6, v4
	v_sub_u32_e32 v7, v6, v4
	v_sub_u32_e32 v6, 0, v11
	v_max_i32_e32 v6, v11, v6
	v_mul_hi_u32 v8, v6, v65
	v_readlane_b32 s4, v126, 36
	v_mul_lo_u32 v9, v8, s4
	v_sub_u32_e32 v6, v6, v9
	v_add_u32_e32 v9, 1, v8
	v_cmp_le_u32_e32 vcc, s4, v6
	v_cndmask_b32_e32 v8, v8, v9, vcc
	v_subrev_u32_e32 v9, s4, v6
	v_readlane_b32 s49, v126, 42
	v_cndmask_b32_e32 v6, v6, v9, vcc
	v_add_u32_e32 v5, s49, v67
	v_add_u32_e32 v9, 1, v8
	v_cmp_le_u32_e32 vcc, s4, v6
	v_cndmask_b32_e32 v6, v8, v9, vcc
	v_sub_u32_e32 v8, 0, v5
	v_max_i32_e32 v8, v5, v8
	v_mul_hi_u32 v9, v8, v66
	v_readlane_b32 s8, v126, 46
	v_mul_lo_u32 v12, v9, s8
	v_sub_u32_e32 v8, v8, v12
	v_add_u32_e32 v12, 1, v9
	v_cmp_le_u32_e32 vcc, s8, v8
	s_mov_b32 s0, s72
	s_mov_b32 s33, s74
	v_readlane_b32 s72, v126, 9
	v_cndmask_b32_e32 v9, v9, v12, vcc
	v_subrev_u32_e32 v12, s8, v8
	s_mov_b32 s72, s0
	v_cndmask_b32_e32 v8, v8, v12, vcc
	v_readlane_b32 s0, v126, 25
	v_add_u32_e32 v12, 1, v9
	v_cmp_le_u32_e32 vcc, s8, v8
	v_subrev_u32_e32 v15, s0, v11
	v_cndmask_b32_e32 v8, v9, v12, vcc
	v_sub_u32_e32 v9, 0, v15
	v_max_i32_e32 v9, v15, v9
	v_mul_hi_u32 v12, v9, v65
	v_mul_lo_u32 v13, v12, s4
	v_sub_u32_e32 v9, v9, v13
	v_add_u32_e32 v13, 1, v12
	v_cmp_le_u32_e32 vcc, s4, v9
	v_cndmask_b32_e32 v12, v12, v13, vcc
	v_subrev_u32_e32 v13, s4, v9
	v_readlane_b32 s51, v126, 44
	v_cndmask_b32_e32 v9, v9, v13, vcc
	v_ashrrev_i32_e32 v4, 31, v11
	v_readlane_b32 s5, v126, 35
	v_add_u32_e32 v13, 1, v12
	v_cmp_le_u32_e32 vcc, s4, v9
	v_subrev_u32_e32 v17, s51, v11
	v_xor_b32_e32 v4, s5, v4
	v_cndmask_b32_e32 v9, v12, v13, vcc
	v_sub_u32_e32 v12, 0, v17
	v_xor_b32_e32 v6, v6, v4
	v_max_i32_e32 v12, v17, v12
	v_sub_u32_e32 v4, v6, v4
	v_ashrrev_i32_e32 v6, 31, v5
	v_readlane_b32 s9, v126, 45
	v_mul_hi_u32 v13, v12, v65
	v_xor_b32_e32 v6, s9, v6
	v_mul_lo_u32 v14, v13, s4
	v_xor_b32_e32 v8, v8, v6
	v_sub_u32_e32 v12, v12, v14
	v_sub_u32_e32 v6, v8, v6
	v_ashrrev_i32_e32 v8, 31, v15
	v_add_u32_e32 v14, 1, v13
	v_cmp_le_u32_e32 vcc, s4, v12
	v_xor_b32_e32 v8, s5, v8
	v_cndmask_b32_e32 v13, v13, v14, vcc
	v_subrev_u32_e32 v14, s4, v12
	v_xor_b32_e32 v9, v9, v8
	v_cndmask_b32_e32 v12, v12, v14, vcc
	v_sub_u32_e32 v8, v9, v8
	v_ashrrev_i32_e32 v9, 31, v17
	v_add_u32_e32 v14, 1, v13
	v_cmp_le_u32_e32 vcc, s4, v12
	v_xor_b32_e32 v9, s5, v9
	v_cndmask_b32_e32 v12, v13, v14, vcc
	v_readlane_b32 s0, v126, 26
	v_xor_b32_e32 v12, v12, v9
	v_subrev_u32_e32 v18, s0, v10
	v_sub_u32_e32 v9, v12, v9
	v_sub_u32_e32 v12, 0, v18
	v_max_i32_e32 v12, v18, v12
	v_mul_hi_u32 v13, v12, v64
	v_mul_lo_u32 v14, v13, s1
	v_sub_u32_e32 v12, v12, v14
	v_add_u32_e32 v14, 1, v13
	v_cmp_le_u32_e32 vcc, s1, v12
	v_cndmask_b32_e32 v13, v13, v14, vcc
	v_subrev_u32_e32 v14, s1, v12
	v_readlane_b32 s50, v126, 43
	v_cndmask_b32_e32 v12, v12, v14, vcc
	v_add_u32_e32 v14, 1, v13
	v_cmp_le_u32_e32 vcc, s1, v12
	v_subrev_u32_e32 v20, s50, v10
	v_cndmask_b32_e32 v26, v13, v14, vcc
	v_sub_u32_e32 v13, 0, v20
	v_max_i32_e32 v13, v20, v13
	v_mul_hi_u32 v14, v13, v64
	v_mul_lo_u32 v19, v14, s1
	v_sub_u32_e32 v13, v13, v19
	v_add_u32_e32 v19, 1, v14
	v_cmp_le_u32_e32 vcc, s1, v13
	v_cndmask_b32_e32 v14, v14, v19, vcc
	v_subrev_u32_e32 v19, s1, v13
	v_cndmask_b32_e32 v13, v13, v19, vcc
	v_ashrrev_i32_e32 v12, 31, v20
	v_add_u32_e32 v19, 1, v14
	v_cmp_le_u32_e32 vcc, s1, v13
	v_xor_b32_e32 v12, s20, v12
	v_cndmask_b32_e32 v13, v14, v19, vcc
	v_or_b32_e32 v24, v6, v4
	v_xor_b32_e32 v13, v13, v12
	v_readlane_b32 s75, v126, 12
	v_sub_u32_e32 v13, v13, v12
	v_or_b32_e32 v12, v24, v7
	v_readlane_b32 s74, v126, 11
	v_cmp_lt_i32_e64 s[0:1], -1, v12
	v_cmp_gt_i32_e32 vcc, s75, v6
	v_readlane_b32 s73, v126, 10
	v_cmp_gt_i32_e64 s[2:3], s74, v4
	s_and_b64 s[0:1], vcc, s[0:1]
	v_cmp_gt_i32_e64 s[6:7], s73, v7
	s_and_b64 s[0:1], s[0:1], s[2:3]
	s_and_b64 s[0:1], s[0:1], s[6:7]
	v_readlane_b32 s45, v126, 38
	v_readlane_b32 s46, v126, 39
	v_writelane_b32 v126, s0, 56
	v_writelane_b32 v126, s1, 57
	v_readlane_b32 s0, v126, 23
	v_subrev_u32_e32 v19, s0, v5
	v_sub_u32_e32 v14, 0, v19
	v_max_i32_e32 v14, v19, v14
	v_mul_hi_u32 v21, v14, v66
	v_mul_lo_u32 v23, v21, s8
	v_sub_u32_e32 v14, v14, v23
	v_add_u32_e32 v23, 1, v21
	v_cmp_le_u32_e64 s[0:1], s8, v14
	v_cndmask_b32_e64 v21, v21, v23, s[0:1]
	v_subrev_u32_e32 v23, s8, v14
	v_cndmask_b32_e64 v14, v14, v23, s[0:1]
	v_ashrrev_i32_e32 v12, 31, v19
	v_add_u32_e32 v23, 1, v21
	v_cmp_le_u32_e64 s[0:1], s8, v14
	v_xor_b32_e32 v12, s9, v12
	v_cndmask_b32_e64 v14, v21, v23, s[0:1]
	v_xor_b32_e32 v14, v14, v12
	v_sub_u32_e32 v12, v14, v12
	v_or_b32_e32 v28, v12, v4
	v_or_b32_e32 v14, v28, v7
	v_cmp_lt_i32_e64 s[4:5], -1, v14
	v_cmp_gt_i32_e64 s[0:1], s75, v12
	s_and_b64 s[4:5], s[0:1], s[4:5]
	s_and_b64 s[4:5], s[4:5], s[2:3]
	;; [unrolled: 1-line block ×3, first 2 shown]
	v_writelane_b32 v126, s4, 58
	v_writelane_b32 v126, s5, 59
	v_readlane_b32 s4, v126, 24
	v_subrev_u32_e32 v21, s4, v5
	v_sub_u32_e32 v25, 0, v21
	v_max_i32_e32 v25, v21, v25
	v_mul_hi_u32 v31, v25, v66
	v_mul_lo_u32 v32, v31, s8
	v_sub_u32_e32 v25, v25, v32
	v_add_u32_e32 v32, 1, v31
	v_cmp_le_u32_e64 s[4:5], s8, v25
	v_cndmask_b32_e64 v31, v31, v32, s[4:5]
	v_subrev_u32_e32 v32, s8, v25
	v_cndmask_b32_e64 v25, v25, v32, s[4:5]
	v_ashrrev_i32_e32 v14, 31, v21
	v_add_u32_e32 v32, 1, v31
	v_cmp_le_u32_e64 s[4:5], s8, v25
	v_xor_b32_e32 v14, s9, v14
	v_cndmask_b32_e64 v25, v31, v32, s[4:5]
	v_xor_b32_e32 v25, v25, v14
	v_sub_u32_e32 v14, v25, v14
	v_or_b32_e32 v32, v14, v4
	v_or_b32_e32 v34, v32, v7
	v_cmp_lt_i32_e64 s[8:9], -1, v34
	v_cmp_gt_i32_e64 s[4:5], s75, v14
	s_and_b64 s[8:9], s[4:5], s[8:9]
	s_and_b64 s[8:9], s[8:9], s[2:3]
	v_or_b32_e32 v22, v6, v9
	s_and_b64 s[8:9], s[8:9], s[6:7]
	v_writelane_b32 v126, s8, 60
	v_or_b32_e32 v35, v22, v7
	v_writelane_b32 v126, s9, 61
	v_cmp_lt_i32_e64 s[8:9], -1, v35
	v_cmp_gt_i32_e64 s[10:11], s74, v9
	s_and_b64 s[8:9], vcc, s[8:9]
	s_and_b64 s[8:9], s[8:9], s[10:11]
	v_or_b32_e32 v27, v12, v9
	s_and_b64 s[8:9], s[8:9], s[6:7]
	v_writelane_b32 v126, s8, 62
	v_or_b32_e32 v36, v27, v7
	v_writelane_b32 v126, s9, 63
	v_cmp_lt_i32_e64 s[8:9], -1, v36
	s_and_b64 s[8:9], s[0:1], s[8:9]
	s_and_b64 s[8:9], s[8:9], s[10:11]
	v_or_b32_e32 v31, v14, v9
	s_and_b64 s[8:9], s[8:9], s[6:7]
                                        ; implicit-def: $vgpr127 : SGPR spill to VGPR lane
	v_or_b32_e32 v37, v31, v7
	v_writelane_b32 v127, s8, 0
	v_writelane_b32 v127, s9, 1
	v_cmp_lt_i32_e64 s[8:9], -1, v37
	s_and_b64 s[8:9], s[4:5], s[8:9]
	v_or_b32_e32 v16, v6, v8
	s_and_b64 s[8:9], s[8:9], s[10:11]
	s_and_b64 s[8:9], s[8:9], s[6:7]
	v_or_b32_e32 v38, v16, v7
	v_writelane_b32 v127, s8, 2
	v_cmp_lt_i32_e64 s[12:13], -1, v38
	v_writelane_b32 v127, s9, 3
	v_cmp_gt_i32_e64 s[8:9], s74, v8
	s_and_b64 s[12:13], vcc, s[12:13]
	s_and_b64 s[12:13], s[12:13], s[8:9]
	v_or_b32_e32 v23, v12, v8
	s_and_b64 s[12:13], s[12:13], s[6:7]
	v_writelane_b32 v127, s12, 4
	v_or_b32_e32 v39, v23, v7
	v_writelane_b32 v127, s13, 5
	v_cmp_lt_i32_e64 s[12:13], -1, v39
	s_and_b64 s[12:13], s[0:1], s[12:13]
	s_and_b64 s[12:13], s[12:13], s[8:9]
	v_or_b32_e32 v25, v14, v8
	s_and_b64 s[12:13], s[12:13], s[6:7]
	v_writelane_b32 v127, s12, 6
	v_or_b32_e32 v40, v25, v7
	v_writelane_b32 v127, s13, 7
	v_cmp_lt_i32_e64 s[12:13], -1, v40
	s_and_b64 s[12:13], s[4:5], s[12:13]
	s_and_b64 s[12:13], s[12:13], s[8:9]
	v_or_b32_e32 v29, v24, v13
	s_and_b64 s[6:7], s[12:13], s[6:7]
	v_writelane_b32 v127, s6, 8
	v_cmp_lt_i32_e64 s[12:13], -1, v29
	s_and_b64 s[14:15], vcc, s[2:3]
	v_or_b32_e32 v30, v28, v13
	v_writelane_b32 v127, s7, 9
	v_cmp_gt_i32_e64 s[6:7], s73, v13
	s_and_b64 s[12:13], s[14:15], s[12:13]
	s_and_b64 s[66:67], s[12:13], s[6:7]
	v_cmp_lt_i32_e64 s[12:13], -1, v30
	s_and_b64 s[16:17], s[0:1], s[2:3]
	s_and_b64 s[12:13], s[16:17], s[12:13]
	;; [unrolled: 1-line block ×3, first 2 shown]
	v_or_b32_e32 v33, v32, v13
	v_writelane_b32 v127, s12, 10
	v_writelane_b32 v127, s13, 11
	v_cmp_lt_i32_e64 s[12:13], -1, v33
	s_and_b64 s[18:19], s[4:5], s[2:3]
	v_or_b32_e32 v34, v22, v13
	s_and_b64 s[2:3], s[18:19], s[12:13]
	s_and_b64 s[56:57], s[2:3], s[6:7]
	v_cmp_lt_i32_e64 s[2:3], -1, v34
	s_and_b64 s[2:3], vcc, s[2:3]
	v_or_b32_e32 v35, v27, v13
	s_and_b64 s[2:3], s[2:3], s[10:11]
	s_and_b64 s[58:59], s[2:3], s[6:7]
	v_cmp_lt_i32_e64 s[2:3], -1, v35
	s_and_b64 s[2:3], s[0:1], s[2:3]
	v_or_b32_e32 v36, v31, v13
	s_and_b64 s[2:3], s[2:3], s[10:11]
	s_and_b64 s[60:61], s[2:3], s[6:7]
	v_cmp_lt_i32_e64 s[2:3], -1, v36
	s_and_b64 s[2:3], s[4:5], s[2:3]
	v_or_b32_e32 v37, v16, v13
	s_and_b64 s[2:3], s[2:3], s[10:11]
	s_and_b64 s[62:63], s[2:3], s[6:7]
	v_cmp_lt_i32_e64 s[2:3], -1, v37
	s_and_b64 s[2:3], vcc, s[2:3]
	v_or_b32_e32 v38, v23, v13
	s_and_b64 s[2:3], s[2:3], s[8:9]
	s_and_b64 s[90:91], s[2:3], s[6:7]
	v_cmp_lt_i32_e64 s[2:3], -1, v38
	s_and_b64 s[2:3], s[0:1], s[2:3]
	v_ashrrev_i32_e32 v29, 31, v18
	v_or_b32_e32 v39, v25, v13
	s_and_b64 s[2:3], s[2:3], s[8:9]
	v_xor_b32_e32 v29, s20, v29
	s_and_b64 s[68:69], s[2:3], s[6:7]
	v_cmp_lt_i32_e64 s[2:3], -1, v39
	v_xor_b32_e32 v26, v26, v29
	s_and_b64 s[2:3], s[4:5], s[2:3]
	v_sub_u32_e32 v50, v26, v29
	s_and_b64 s[2:3], s[2:3], s[8:9]
	v_or_b32_e32 v24, v24, v50
	s_and_b64 s[70:71], s[2:3], s[6:7]
	v_cmp_lt_i32_e64 s[2:3], -1, v24
	v_or_b32_e32 v24, v28, v50
	s_and_b64 s[14:15], s[14:15], s[2:3]
	v_cmp_lt_i32_e64 s[2:3], -1, v24
	;; [unrolled: 3-line block ×4, first 2 shown]
	v_or_b32_e32 v24, v27, v50
	s_and_b64 s[2:3], vcc, s[2:3]
	s_and_b64 s[20:21], s[2:3], s[10:11]
	v_cmp_lt_i32_e64 s[2:3], -1, v24
	v_or_b32_e32 v26, v31, v50
	s_and_b64 s[2:3], s[0:1], s[2:3]
	s_and_b64 s[22:23], s[2:3], s[10:11]
	v_cmp_lt_i32_e64 s[2:3], -1, v26
	s_and_b64 s[2:3], s[4:5], s[2:3]
	v_mul_lo_u32 v22, v7, s44
	v_mul_lo_u32 v24, v4, s45
	v_mul_lo_u32 v26, v9, s45
	v_mul_lo_u32 v27, v8, s45
	s_and_b64 s[24:25], s[2:3], s[10:11]
	v_cmp_eq_u32_e64 s[2:3], v22, v10
	v_cmp_eq_u32_e64 s[6:7], v24, v11
	v_cmp_eq_u32_e64 s[10:11], v26, v17
	v_cmp_eq_u32_e64 s[12:13], v27, v15
	v_mul_lo_u32 v10, v13, s44
	s_and_b64 s[26:27], s[2:3], s[6:7]
	s_and_b64 s[28:29], s[2:3], s[10:11]
	;; [unrolled: 1-line block ×3, first 2 shown]
	v_cmp_eq_u32_e64 s[2:3], v10, v20
	v_mul_lo_u32 v10, v50, s44
	s_and_b64 s[34:35], s[2:3], s[6:7]
	s_and_b64 s[36:37], s[2:3], s[10:11]
	;; [unrolled: 1-line block ×3, first 2 shown]
	v_cmp_eq_u32_e64 s[2:3], v10, v18
	v_or_b32_e32 v10, v16, v50
	s_and_b64 s[42:43], s[2:3], s[6:7]
	s_and_b64 s[48:49], s[2:3], s[10:11]
	;; [unrolled: 1-line block ×3, first 2 shown]
	v_cmp_lt_i32_e64 s[2:3], -1, v10
	v_or_b32_e32 v10, v23, v50
	s_and_b64 s[2:3], vcc, s[2:3]
	v_cmp_lt_i32_e32 vcc, -1, v10
	v_or_b32_e32 v10, v25, v50
	s_and_b64 s[0:1], s[0:1], vcc
	v_cmp_lt_i32_e32 vcc, -1, v10
	s_and_b64 s[4:5], s[4:5], vcc
	s_and_b64 s[2:3], s[2:3], s[8:9]
	s_and_b64 s[0:1], s[0:1], s[8:9]
	;; [unrolled: 1-line block ×3, first 2 shown]
	v_cmp_gt_i32_e32 vcc, s73, v50
	v_mul_lo_u32 v10, v6, s46
	s_and_b64 s[88:89], s[14:15], vcc
	s_and_b64 s[82:83], s[16:17], vcc
	s_and_b64 s[92:93], s[18:19], vcc
	s_and_b64 s[94:95], s[20:21], vcc
	s_and_b64 s[80:81], s[22:23], vcc
	s_and_b64 s[86:87], s[24:25], vcc
	s_and_b64 s[84:85], s[2:3], vcc
	s_and_b64 s[76:77], s[0:1], vcc
	s_and_b64 s[78:79], s[4:5], vcc
	v_cmp_eq_u32_e32 vcc, v10, v5
	v_mul_lo_u32 v5, v7, s74
	v_add_u32_e32 v7, v4, v5
	v_mul_lo_u32 v7, v7, s75
	v_add_u32_e32 v10, v6, v7
	v_add_u32_e32 v16, v12, v7
	;; [unrolled: 1-line block ×5, first 2 shown]
	v_mul_lo_u32 v5, v5, s75
	v_mul_lo_u32 v7, v7, s75
	v_add_u32_e32 v26, v6, v5
	v_add_u32_e32 v28, v12, v5
	;; [unrolled: 1-line block ×3, first 2 shown]
	v_mul_lo_u32 v5, v13, s74
	v_add_u32_e32 v20, v6, v7
	v_add_u32_e32 v22, v12, v7
	;; [unrolled: 1-line block ×4, first 2 shown]
	v_mul_lo_u32 v7, v7, s75
	v_add_u32_e32 v32, v6, v7
	v_add_u32_e32 v34, v12, v7
	;; [unrolled: 1-line block ×5, first 2 shown]
	v_mul_lo_u32 v5, v5, s75
	v_add_u32_e32 v44, v6, v5
	v_add_u32_e32 v46, v12, v5
	v_add_u32_e32 v48, v14, v5
	v_mul_lo_u32 v5, v50, s74
	v_add_u32_e32 v4, v4, v5
	v_mul_lo_u32 v4, v4, s75
	v_add_u32_e32 v50, v6, v4
	v_add_u32_e32 v52, v12, v4
	;; [unrolled: 1-line block ×4, first 2 shown]
	v_mul_lo_u32 v4, v4, s75
	v_add_u32_e32 v56, v6, v4
	v_add_u32_e32 v58, v12, v4
	;; [unrolled: 1-line block ×4, first 2 shown]
	v_mul_lo_u32 v7, v7, s75
	v_mul_lo_u32 v4, v4, s75
	;; [unrolled: 1-line block ×4, first 2 shown]
	v_add_u32_e32 v38, v6, v7
	v_add_u32_e32 v40, v12, v7
	;; [unrolled: 1-line block ×6, first 2 shown]
	v_cmp_eq_u32_e64 s[52:53], v11, v19
	v_cmp_eq_u32_e64 s[54:55], v15, v21
	v_ashrrev_i32_e32 v11, 31, v10
	v_ashrrev_i32_e32 v17, 31, v16
	;; [unrolled: 1-line block ×18, first 2 shown]
	s_mov_b32 s74, s33
	v_ashrrev_i32_e32 v51, 31, v50
	v_ashrrev_i32_e32 v53, 31, v52
	;; [unrolled: 1-line block ×9, first 2 shown]
	v_readlane_b32 s33, v126, 49
	s_mov_b32 s73, 0
	s_and_b64 s[0:1], s[26:27], vcc
	s_and_b64 s[2:3], s[26:27], s[52:53]
	s_and_b64 s[4:5], s[26:27], s[54:55]
	s_and_b64 s[6:7], s[28:29], vcc
	s_and_b64 s[8:9], s[28:29], s[52:53]
	s_and_b64 s[10:11], s[28:29], s[54:55]
	;; [unrolled: 3-line block ×9, first 2 shown]
	v_mul_lo_u32 v4, s33, v70
	v_mov_b32_e32 v74, 0
	v_lshlrev_b64 v[6:7], 2, v[10:11]
	v_lshlrev_b64 v[8:9], 2, v[16:17]
	;; [unrolled: 1-line block ×27, first 2 shown]
	s_mov_b32 s33, s74
	s_branch .LBB20_6
.LBB20_5:                               ;   in Loop: Header=BB20_6 Depth=2
	s_or_b64 exec, exec, s[64:65]
	s_waitcnt vmcnt(26)
	v_fma_f32 v5, v75, v5, v74
	v_cndmask_b32_e64 v5, v74, v5, s[0:1]
	s_waitcnt vmcnt(25)
	v_fma_f32 v74, v78, v80, v5
	v_cndmask_b32_e64 v5, v5, v74, s[2:3]
	;; [unrolled: 3-line block ×26, first 2 shown]
	v_readlane_b32 s64, v126, 47
	s_waitcnt vmcnt(0)
	v_fma_f32 v60, v63, v61, v5
	v_add_co_u32_e32 v2, vcc, 0x6c, v2
	s_add_i32 s33, s33, -1
	v_readlane_b32 s65, v126, 48
	v_cndmask_b32_e64 v74, v5, v60, s[54:55]
	v_addc_co_u32_e32 v3, vcc, 0, v3, vcc
	s_cmp_eq_u32 s33, 0
	v_add_u32_e32 v4, s65, v4
	s_cbranch_scc1 .LBB20_2
.LBB20_6:                               ;   Parent Loop BB20_3 Depth=1
                                        ; =>  This Inner Loop Header: Depth=2
	global_load_dword v75, v[2:3], off
	v_ashrrev_i32_e32 v5, 31, v4
	v_lshlrev_b64 v[60:61], 2, v[4:5]
	v_add_co_u32_e32 v76, vcc, v72, v60
	v_addc_co_u32_e32 v77, vcc, v73, v61, vcc
	v_mov_b32_e32 v5, 0
	s_mov_b64 s[64:65], exec
	v_readlane_b32 vcc_lo, v126, 56
	v_readlane_b32 vcc_hi, v126, 57
	s_and_b64 vcc, s[64:65], vcc
	s_mov_b64 exec, vcc
	s_cbranch_execz .LBB20_8
; %bb.7:                                ;   in Loop: Header=BB20_6 Depth=2
	v_add_co_u32_e32 v60, vcc, v76, v6
	v_addc_co_u32_e32 v61, vcc, v77, v7, vcc
	global_load_dword v5, v[60:61], off
.LBB20_8:                               ;   in Loop: Header=BB20_6 Depth=2
	s_or_b64 exec, exec, s[64:65]
	global_load_dword v78, v[2:3], off offset:4
	v_mov_b32_e32 v79, 0
	v_mov_b32_e32 v80, 0
	s_mov_b64 s[64:65], exec
	v_readlane_b32 vcc_lo, v126, 58
	v_readlane_b32 vcc_hi, v126, 59
	s_and_b64 vcc, s[64:65], vcc
	s_mov_b64 exec, vcc
	s_cbranch_execz .LBB20_10
; %bb.9:                                ;   in Loop: Header=BB20_6 Depth=2
	v_add_co_u32_e32 v60, vcc, v76, v8
	v_addc_co_u32_e32 v61, vcc, v77, v9, vcc
	global_load_dword v80, v[60:61], off
.LBB20_10:                              ;   in Loop: Header=BB20_6 Depth=2
	s_or_b64 exec, exec, s[64:65]
	global_load_dword v81, v[2:3], off offset:8
	s_mov_b64 s[64:65], exec
	v_readlane_b32 vcc_lo, v126, 60
	v_readlane_b32 vcc_hi, v126, 61
	s_and_b64 vcc, s[64:65], vcc
	s_mov_b64 exec, vcc
	s_cbranch_execz .LBB20_12
; %bb.11:                               ;   in Loop: Header=BB20_6 Depth=2
	v_add_co_u32_e32 v60, vcc, v76, v10
	v_addc_co_u32_e32 v61, vcc, v77, v11, vcc
	global_load_dword v79, v[60:61], off
.LBB20_12:                              ;   in Loop: Header=BB20_6 Depth=2
	s_or_b64 exec, exec, s[64:65]
	global_load_dword v82, v[2:3], off offset:12
	v_mov_b32_e32 v83, 0
	v_mov_b32_e32 v84, 0
	s_mov_b64 s[64:65], exec
	v_readlane_b32 vcc_lo, v126, 62
	v_readlane_b32 vcc_hi, v126, 63
	s_and_b64 vcc, s[64:65], vcc
	s_mov_b64 exec, vcc
	s_cbranch_execz .LBB20_14
; %bb.13:                               ;   in Loop: Header=BB20_6 Depth=2
	v_add_co_u32_e32 v60, vcc, v76, v12
	v_addc_co_u32_e32 v61, vcc, v77, v13, vcc
	global_load_dword v84, v[60:61], off
.LBB20_14:                              ;   in Loop: Header=BB20_6 Depth=2
	s_or_b64 exec, exec, s[64:65]
	global_load_dword v85, v[2:3], off offset:16
	s_mov_b64 s[64:65], exec
	v_readlane_b32 vcc_lo, v127, 0
	v_readlane_b32 vcc_hi, v127, 1
	s_and_b64 vcc, s[64:65], vcc
	s_mov_b64 exec, vcc
	s_cbranch_execz .LBB20_16
; %bb.15:                               ;   in Loop: Header=BB20_6 Depth=2
	v_add_co_u32_e32 v60, vcc, v76, v14
	v_addc_co_u32_e32 v61, vcc, v77, v15, vcc
	global_load_dword v83, v[60:61], off
.LBB20_16:                              ;   in Loop: Header=BB20_6 Depth=2
	s_or_b64 exec, exec, s[64:65]
	global_load_dword v86, v[2:3], off offset:20
	v_mov_b32_e32 v87, 0
	v_mov_b32_e32 v88, 0
	s_mov_b64 s[64:65], exec
	v_readlane_b32 vcc_lo, v127, 2
	v_readlane_b32 vcc_hi, v127, 3
	s_and_b64 vcc, s[64:65], vcc
	s_mov_b64 exec, vcc
	s_cbranch_execz .LBB20_18
; %bb.17:                               ;   in Loop: Header=BB20_6 Depth=2
	v_add_co_u32_e32 v60, vcc, v76, v16
	v_addc_co_u32_e32 v61, vcc, v77, v17, vcc
	global_load_dword v88, v[60:61], off
.LBB20_18:                              ;   in Loop: Header=BB20_6 Depth=2
	;; [unrolled: 28-line block ×3, first 2 shown]
	s_or_b64 exec, exec, s[64:65]
	global_load_dword v93, v[2:3], off offset:32
	s_mov_b64 s[64:65], exec
	v_readlane_b32 vcc_lo, v127, 8
	v_readlane_b32 vcc_hi, v127, 9
	s_and_b64 vcc, s[64:65], vcc
	s_mov_b64 exec, vcc
	s_cbranch_execz .LBB20_24
; %bb.23:                               ;   in Loop: Header=BB20_6 Depth=2
	v_add_co_u32_e32 v60, vcc, v76, v22
	v_addc_co_u32_e32 v61, vcc, v77, v23, vcc
	global_load_dword v91, v[60:61], off
.LBB20_24:                              ;   in Loop: Header=BB20_6 Depth=2
	s_or_b64 exec, exec, s[64:65]
	global_load_dword v94, v[2:3], off offset:36
	v_mov_b32_e32 v95, 0
	v_mov_b32_e32 v96, 0
	s_and_saveexec_b64 s[64:65], s[66:67]
	s_cbranch_execz .LBB20_26
; %bb.25:                               ;   in Loop: Header=BB20_6 Depth=2
	v_add_co_u32_e32 v60, vcc, v76, v24
	v_addc_co_u32_e32 v61, vcc, v77, v25, vcc
	global_load_dword v96, v[60:61], off
.LBB20_26:                              ;   in Loop: Header=BB20_6 Depth=2
	s_or_b64 exec, exec, s[64:65]
	global_load_dword v97, v[2:3], off offset:40
	s_mov_b64 s[64:65], exec
	v_readlane_b32 vcc_lo, v127, 10
	v_readlane_b32 vcc_hi, v127, 11
	s_and_b64 vcc, s[64:65], vcc
	s_mov_b64 exec, vcc
	s_cbranch_execz .LBB20_28
; %bb.27:                               ;   in Loop: Header=BB20_6 Depth=2
	v_add_co_u32_e32 v60, vcc, v76, v26
	v_addc_co_u32_e32 v61, vcc, v77, v27, vcc
	global_load_dword v95, v[60:61], off
.LBB20_28:                              ;   in Loop: Header=BB20_6 Depth=2
	s_or_b64 exec, exec, s[64:65]
	global_load_dword v98, v[2:3], off offset:44
	v_mov_b32_e32 v99, 0
	v_mov_b32_e32 v100, 0
	s_and_saveexec_b64 s[64:65], s[56:57]
	s_cbranch_execz .LBB20_30
; %bb.29:                               ;   in Loop: Header=BB20_6 Depth=2
	v_add_co_u32_e32 v60, vcc, v76, v28
	v_addc_co_u32_e32 v61, vcc, v77, v29, vcc
	global_load_dword v100, v[60:61], off
.LBB20_30:                              ;   in Loop: Header=BB20_6 Depth=2
	s_or_b64 exec, exec, s[64:65]
	global_load_dword v101, v[2:3], off offset:48
	s_and_saveexec_b64 s[64:65], s[58:59]
	s_cbranch_execz .LBB20_32
; %bb.31:                               ;   in Loop: Header=BB20_6 Depth=2
	v_add_co_u32_e32 v60, vcc, v76, v30
	v_addc_co_u32_e32 v61, vcc, v77, v31, vcc
	global_load_dword v99, v[60:61], off
.LBB20_32:                              ;   in Loop: Header=BB20_6 Depth=2
	s_or_b64 exec, exec, s[64:65]
	global_load_dword v102, v[2:3], off offset:52
	v_mov_b32_e32 v103, 0
	v_mov_b32_e32 v104, 0
	s_and_saveexec_b64 s[64:65], s[60:61]
	s_cbranch_execz .LBB20_34
; %bb.33:                               ;   in Loop: Header=BB20_6 Depth=2
	v_add_co_u32_e32 v60, vcc, v76, v32
	v_addc_co_u32_e32 v61, vcc, v77, v33, vcc
	global_load_dword v104, v[60:61], off
.LBB20_34:                              ;   in Loop: Header=BB20_6 Depth=2
	s_or_b64 exec, exec, s[64:65]
	global_load_dword v105, v[2:3], off offset:56
	s_and_saveexec_b64 s[64:65], s[62:63]
	s_cbranch_execz .LBB20_36
; %bb.35:                               ;   in Loop: Header=BB20_6 Depth=2
	v_add_co_u32_e32 v60, vcc, v76, v34
	v_addc_co_u32_e32 v61, vcc, v77, v35, vcc
	global_load_dword v103, v[60:61], off
.LBB20_36:                              ;   in Loop: Header=BB20_6 Depth=2
	s_or_b64 exec, exec, s[64:65]
	global_load_dword v106, v[2:3], off offset:60
	v_mov_b32_e32 v107, 0
	v_mov_b32_e32 v108, 0
	s_and_saveexec_b64 s[64:65], s[90:91]
	s_cbranch_execz .LBB20_38
; %bb.37:                               ;   in Loop: Header=BB20_6 Depth=2
	v_add_co_u32_e32 v60, vcc, v76, v36
	v_addc_co_u32_e32 v61, vcc, v77, v37, vcc
	global_load_dword v108, v[60:61], off
.LBB20_38:                              ;   in Loop: Header=BB20_6 Depth=2
	s_or_b64 exec, exec, s[64:65]
	global_load_dword v109, v[2:3], off offset:64
	s_and_saveexec_b64 s[64:65], s[68:69]
	s_cbranch_execz .LBB20_40
; %bb.39:                               ;   in Loop: Header=BB20_6 Depth=2
	v_add_co_u32_e32 v60, vcc, v76, v38
	v_addc_co_u32_e32 v61, vcc, v77, v39, vcc
	global_load_dword v107, v[60:61], off
.LBB20_40:                              ;   in Loop: Header=BB20_6 Depth=2
	s_or_b64 exec, exec, s[64:65]
	global_load_dword v110, v[2:3], off offset:68
	v_mov_b32_e32 v111, 0
	v_mov_b32_e32 v112, 0
	s_and_saveexec_b64 s[64:65], s[70:71]
	s_cbranch_execz .LBB20_42
; %bb.41:                               ;   in Loop: Header=BB20_6 Depth=2
	v_add_co_u32_e32 v60, vcc, v76, v40
	v_addc_co_u32_e32 v61, vcc, v77, v41, vcc
	global_load_dword v112, v[60:61], off
.LBB20_42:                              ;   in Loop: Header=BB20_6 Depth=2
	s_or_b64 exec, exec, s[64:65]
	global_load_dword v113, v[2:3], off offset:72
	s_and_saveexec_b64 s[64:65], s[88:89]
	s_cbranch_execz .LBB20_44
; %bb.43:                               ;   in Loop: Header=BB20_6 Depth=2
	v_add_co_u32_e32 v60, vcc, v76, v42
	v_addc_co_u32_e32 v61, vcc, v77, v43, vcc
	global_load_dword v111, v[60:61], off
.LBB20_44:                              ;   in Loop: Header=BB20_6 Depth=2
	s_or_b64 exec, exec, s[64:65]
	global_load_dword v114, v[2:3], off offset:76
	v_mov_b32_e32 v115, 0
	v_mov_b32_e32 v116, 0
	s_and_saveexec_b64 s[64:65], s[82:83]
	s_cbranch_execz .LBB20_46
; %bb.45:                               ;   in Loop: Header=BB20_6 Depth=2
	v_add_co_u32_e32 v60, vcc, v76, v44
	v_addc_co_u32_e32 v61, vcc, v77, v45, vcc
	global_load_dword v116, v[60:61], off
.LBB20_46:                              ;   in Loop: Header=BB20_6 Depth=2
	s_or_b64 exec, exec, s[64:65]
	global_load_dword v117, v[2:3], off offset:80
	s_and_saveexec_b64 s[64:65], s[92:93]
	s_cbranch_execz .LBB20_48
; %bb.47:                               ;   in Loop: Header=BB20_6 Depth=2
	v_add_co_u32_e32 v60, vcc, v76, v46
	v_addc_co_u32_e32 v61, vcc, v77, v47, vcc
	global_load_dword v115, v[60:61], off
.LBB20_48:                              ;   in Loop: Header=BB20_6 Depth=2
	s_or_b64 exec, exec, s[64:65]
	global_load_dword v118, v[2:3], off offset:84
	v_mov_b32_e32 v119, 0
	v_mov_b32_e32 v120, 0
	s_and_saveexec_b64 s[64:65], s[94:95]
	s_cbranch_execz .LBB20_50
; %bb.49:                               ;   in Loop: Header=BB20_6 Depth=2
	v_add_co_u32_e32 v60, vcc, v76, v48
	v_addc_co_u32_e32 v61, vcc, v77, v49, vcc
	global_load_dword v120, v[60:61], off
.LBB20_50:                              ;   in Loop: Header=BB20_6 Depth=2
	s_or_b64 exec, exec, s[64:65]
	global_load_dword v121, v[2:3], off offset:88
	s_and_saveexec_b64 s[64:65], s[80:81]
	s_cbranch_execz .LBB20_52
; %bb.51:                               ;   in Loop: Header=BB20_6 Depth=2
	v_add_co_u32_e32 v60, vcc, v76, v50
	v_addc_co_u32_e32 v61, vcc, v77, v51, vcc
	global_load_dword v119, v[60:61], off
.LBB20_52:                              ;   in Loop: Header=BB20_6 Depth=2
	s_or_b64 exec, exec, s[64:65]
	global_load_dword v122, v[2:3], off offset:92
	v_mov_b32_e32 v123, 0
	v_mov_b32_e32 v124, 0
	s_and_saveexec_b64 s[64:65], s[86:87]
	s_cbranch_execz .LBB20_54
; %bb.53:                               ;   in Loop: Header=BB20_6 Depth=2
	v_add_co_u32_e32 v60, vcc, v76, v52
	v_addc_co_u32_e32 v61, vcc, v77, v53, vcc
	global_load_dword v124, v[60:61], off
.LBB20_54:                              ;   in Loop: Header=BB20_6 Depth=2
	s_or_b64 exec, exec, s[64:65]
	global_load_dword v125, v[2:3], off offset:96
	s_and_saveexec_b64 s[64:65], s[84:85]
	s_cbranch_execz .LBB20_56
; %bb.55:                               ;   in Loop: Header=BB20_6 Depth=2
	v_add_co_u32_e32 v60, vcc, v76, v54
	v_addc_co_u32_e32 v61, vcc, v77, v55, vcc
	global_load_dword v123, v[60:61], off
.LBB20_56:                              ;   in Loop: Header=BB20_6 Depth=2
	s_or_b64 exec, exec, s[64:65]
	global_load_dword v60, v[2:3], off offset:100
	v_mov_b32_e32 v61, 0
	v_mov_b32_e32 v62, 0
	s_and_saveexec_b64 s[64:65], s[76:77]
	s_cbranch_execz .LBB20_58
; %bb.57:                               ;   in Loop: Header=BB20_6 Depth=2
	v_add_co_u32_e32 v62, vcc, v76, v56
	v_addc_co_u32_e32 v63, vcc, v77, v57, vcc
	global_load_dword v62, v[62:63], off
.LBB20_58:                              ;   in Loop: Header=BB20_6 Depth=2
	s_or_b64 exec, exec, s[64:65]
	global_load_dword v63, v[2:3], off offset:104
	s_and_saveexec_b64 s[64:65], s[78:79]
	s_cbranch_execz .LBB20_5
; %bb.59:                               ;   in Loop: Header=BB20_6 Depth=2
	v_add_co_u32_e32 v76, vcc, v76, v58
	v_addc_co_u32_e32 v77, vcc, v77, v59, vcc
	global_load_dword v61, v[76:77], off
	s_branch .LBB20_5
.LBB20_60:
	s_endpgm
	.section	.rodata,"a",@progbits
	.p2align	6, 0x0
	.amdhsa_kernel _ZN2at6native12_GLOBAL__N_143conv_depthwise3d_cuda_backward_input_kernelIffLi3ELi3ELi3ELin1ELin1ELin1ELin1ELin1ELin1EEEvN5torch10headeronly6detail27GenericPackedTensorAccessorINS5_14TensorAccessorIN3c108ArrayRefIlEEKT_Lm4ENS4_16DefaultPtrTraitsEiEENS_6detail16IndexBoundsCheckILm5EiEESC_Lm5ESD_iEENS6_INS7_ISA_SB_Lm4ESD_iEESH_SB_Lm5ESD_iEESI_iiiiiiiii
		.amdhsa_group_segment_fixed_size 0
		.amdhsa_private_segment_fixed_size 20
		.amdhsa_kernarg_size 440
		.amdhsa_user_sgpr_count 6
		.amdhsa_user_sgpr_private_segment_buffer 1
		.amdhsa_user_sgpr_dispatch_ptr 0
		.amdhsa_user_sgpr_queue_ptr 0
		.amdhsa_user_sgpr_kernarg_segment_ptr 1
		.amdhsa_user_sgpr_dispatch_id 0
		.amdhsa_user_sgpr_flat_scratch_init 0
		.amdhsa_user_sgpr_kernarg_preload_length 0
		.amdhsa_user_sgpr_kernarg_preload_offset 0
		.amdhsa_user_sgpr_private_segment_size 0
		.amdhsa_uses_dynamic_stack 0
		.amdhsa_system_sgpr_private_segment_wavefront_offset 1
		.amdhsa_system_sgpr_workgroup_id_x 1
		.amdhsa_system_sgpr_workgroup_id_y 0
		.amdhsa_system_sgpr_workgroup_id_z 0
		.amdhsa_system_sgpr_workgroup_info 0
		.amdhsa_system_vgpr_workitem_id 0
		.amdhsa_next_free_vgpr 128
		.amdhsa_next_free_sgpr 100
		.amdhsa_accum_offset 128
		.amdhsa_reserve_vcc 1
		.amdhsa_reserve_flat_scratch 0
		.amdhsa_float_round_mode_32 0
		.amdhsa_float_round_mode_16_64 0
		.amdhsa_float_denorm_mode_32 3
		.amdhsa_float_denorm_mode_16_64 3
		.amdhsa_dx10_clamp 1
		.amdhsa_ieee_mode 1
		.amdhsa_fp16_overflow 0
		.amdhsa_tg_split 0
		.amdhsa_exception_fp_ieee_invalid_op 0
		.amdhsa_exception_fp_denorm_src 0
		.amdhsa_exception_fp_ieee_div_zero 0
		.amdhsa_exception_fp_ieee_overflow 0
		.amdhsa_exception_fp_ieee_underflow 0
		.amdhsa_exception_fp_ieee_inexact 0
		.amdhsa_exception_int_div_zero 0
	.end_amdhsa_kernel
	.section	.text._ZN2at6native12_GLOBAL__N_143conv_depthwise3d_cuda_backward_input_kernelIffLi3ELi3ELi3ELin1ELin1ELin1ELin1ELin1ELin1EEEvN5torch10headeronly6detail27GenericPackedTensorAccessorINS5_14TensorAccessorIN3c108ArrayRefIlEEKT_Lm4ENS4_16DefaultPtrTraitsEiEENS_6detail16IndexBoundsCheckILm5EiEESC_Lm5ESD_iEENS6_INS7_ISA_SB_Lm4ESD_iEESH_SB_Lm5ESD_iEESI_iiiiiiiii,"axG",@progbits,_ZN2at6native12_GLOBAL__N_143conv_depthwise3d_cuda_backward_input_kernelIffLi3ELi3ELi3ELin1ELin1ELin1ELin1ELin1ELin1EEEvN5torch10headeronly6detail27GenericPackedTensorAccessorINS5_14TensorAccessorIN3c108ArrayRefIlEEKT_Lm4ENS4_16DefaultPtrTraitsEiEENS_6detail16IndexBoundsCheckILm5EiEESC_Lm5ESD_iEENS6_INS7_ISA_SB_Lm4ESD_iEESH_SB_Lm5ESD_iEESI_iiiiiiiii,comdat
.Lfunc_end20:
	.size	_ZN2at6native12_GLOBAL__N_143conv_depthwise3d_cuda_backward_input_kernelIffLi3ELi3ELi3ELin1ELin1ELin1ELin1ELin1ELin1EEEvN5torch10headeronly6detail27GenericPackedTensorAccessorINS5_14TensorAccessorIN3c108ArrayRefIlEEKT_Lm4ENS4_16DefaultPtrTraitsEiEENS_6detail16IndexBoundsCheckILm5EiEESC_Lm5ESD_iEENS6_INS7_ISA_SB_Lm4ESD_iEESH_SB_Lm5ESD_iEESI_iiiiiiiii, .Lfunc_end20-_ZN2at6native12_GLOBAL__N_143conv_depthwise3d_cuda_backward_input_kernelIffLi3ELi3ELi3ELin1ELin1ELin1ELin1ELin1ELin1EEEvN5torch10headeronly6detail27GenericPackedTensorAccessorINS5_14TensorAccessorIN3c108ArrayRefIlEEKT_Lm4ENS4_16DefaultPtrTraitsEiEENS_6detail16IndexBoundsCheckILm5EiEESC_Lm5ESD_iEENS6_INS7_ISA_SB_Lm4ESD_iEESH_SB_Lm5ESD_iEESI_iiiiiiiii
                                        ; -- End function
	.section	.AMDGPU.csdata,"",@progbits
; Kernel info:
; codeLenInByte = 6772
; NumSgprs: 104
; NumVgprs: 128
; NumAgprs: 0
; TotalNumVgprs: 128
; ScratchSize: 20
; MemoryBound: 0
; FloatMode: 240
; IeeeMode: 1
; LDSByteSize: 0 bytes/workgroup (compile time only)
; SGPRBlocks: 12
; VGPRBlocks: 15
; NumSGPRsForWavesPerEU: 104
; NumVGPRsForWavesPerEU: 128
; AccumOffset: 128
; Occupancy: 4
; WaveLimiterHint : 0
; COMPUTE_PGM_RSRC2:SCRATCH_EN: 1
; COMPUTE_PGM_RSRC2:USER_SGPR: 6
; COMPUTE_PGM_RSRC2:TRAP_HANDLER: 0
; COMPUTE_PGM_RSRC2:TGID_X_EN: 1
; COMPUTE_PGM_RSRC2:TGID_Y_EN: 0
; COMPUTE_PGM_RSRC2:TGID_Z_EN: 0
; COMPUTE_PGM_RSRC2:TIDIG_COMP_CNT: 0
; COMPUTE_PGM_RSRC3_GFX90A:ACCUM_OFFSET: 31
; COMPUTE_PGM_RSRC3_GFX90A:TG_SPLIT: 0
	.section	.text._ZN2at6native12_GLOBAL__N_143conv_depthwise3d_cuda_backward_input_kernelIffLin1ELin1ELin1ELin1ELin1ELin1ELin1ELin1ELin1EEEvN5torch10headeronly6detail27GenericPackedTensorAccessorINS5_14TensorAccessorIN3c108ArrayRefIlEEKT_Lm4ENS4_16DefaultPtrTraitsEiEENS_6detail16IndexBoundsCheckILm5EiEESC_Lm5ESD_iEENS6_INS7_ISA_SB_Lm4ESD_iEESH_SB_Lm5ESD_iEESI_iiiiiiiii,"axG",@progbits,_ZN2at6native12_GLOBAL__N_143conv_depthwise3d_cuda_backward_input_kernelIffLin1ELin1ELin1ELin1ELin1ELin1ELin1ELin1ELin1EEEvN5torch10headeronly6detail27GenericPackedTensorAccessorINS5_14TensorAccessorIN3c108ArrayRefIlEEKT_Lm4ENS4_16DefaultPtrTraitsEiEENS_6detail16IndexBoundsCheckILm5EiEESC_Lm5ESD_iEENS6_INS7_ISA_SB_Lm4ESD_iEESH_SB_Lm5ESD_iEESI_iiiiiiiii,comdat
	.globl	_ZN2at6native12_GLOBAL__N_143conv_depthwise3d_cuda_backward_input_kernelIffLin1ELin1ELin1ELin1ELin1ELin1ELin1ELin1ELin1EEEvN5torch10headeronly6detail27GenericPackedTensorAccessorINS5_14TensorAccessorIN3c108ArrayRefIlEEKT_Lm4ENS4_16DefaultPtrTraitsEiEENS_6detail16IndexBoundsCheckILm5EiEESC_Lm5ESD_iEENS6_INS7_ISA_SB_Lm4ESD_iEESH_SB_Lm5ESD_iEESI_iiiiiiiii ; -- Begin function _ZN2at6native12_GLOBAL__N_143conv_depthwise3d_cuda_backward_input_kernelIffLin1ELin1ELin1ELin1ELin1ELin1ELin1ELin1ELin1EEEvN5torch10headeronly6detail27GenericPackedTensorAccessorINS5_14TensorAccessorIN3c108ArrayRefIlEEKT_Lm4ENS4_16DefaultPtrTraitsEiEENS_6detail16IndexBoundsCheckILm5EiEESC_Lm5ESD_iEENS6_INS7_ISA_SB_Lm4ESD_iEESH_SB_Lm5ESD_iEESI_iiiiiiiii
	.p2align	8
	.type	_ZN2at6native12_GLOBAL__N_143conv_depthwise3d_cuda_backward_input_kernelIffLin1ELin1ELin1ELin1ELin1ELin1ELin1ELin1ELin1EEEvN5torch10headeronly6detail27GenericPackedTensorAccessorINS5_14TensorAccessorIN3c108ArrayRefIlEEKT_Lm4ENS4_16DefaultPtrTraitsEiEENS_6detail16IndexBoundsCheckILm5EiEESC_Lm5ESD_iEENS6_INS7_ISA_SB_Lm4ESD_iEESH_SB_Lm5ESD_iEESI_iiiiiiiii,@function
_ZN2at6native12_GLOBAL__N_143conv_depthwise3d_cuda_backward_input_kernelIffLin1ELin1ELin1ELin1ELin1ELin1ELin1ELin1ELin1EEEvN5torch10headeronly6detail27GenericPackedTensorAccessorINS5_14TensorAccessorIN3c108ArrayRefIlEEKT_Lm4ENS4_16DefaultPtrTraitsEiEENS_6detail16IndexBoundsCheckILm5EiEESC_Lm5ESD_iEENS6_INS7_ISA_SB_Lm4ESD_iEESH_SB_Lm5ESD_iEESI_iiiiiiiii: ; @_ZN2at6native12_GLOBAL__N_143conv_depthwise3d_cuda_backward_input_kernelIffLin1ELin1ELin1ELin1ELin1ELin1ELin1ELin1ELin1EEEvN5torch10headeronly6detail27GenericPackedTensorAccessorINS5_14TensorAccessorIN3c108ArrayRefIlEEKT_Lm4ENS4_16DefaultPtrTraitsEiEENS_6detail16IndexBoundsCheckILm5EiEESC_Lm5ESD_iEENS6_INS7_ISA_SB_Lm4ESD_iEESH_SB_Lm5ESD_iEESI_iiiiiiiii
; %bb.0:
	s_load_dwordx4 s[20:23], s[4:5], 0x38
	s_load_dwordx2 s[10:11], s[4:5], 0x48
	s_load_dword s2, s[4:5], 0xc4
	v_mov_b32_e32 v1, 0
	v_mov_b32_e32 v3, s6
	s_waitcnt lgkmcnt(0)
	s_abs_i32 s33, s21
	v_cvt_f32_u32_e32 v2, s33
	s_add_u32 s0, s4, 0xb8
	s_mul_i32 s34, s11, s20
	s_addc_u32 s1, s5, 0
	v_rcp_iflag_f32_e32 v2, v2
	s_and_b32 s2, s2, 0xffff
	s_ashr_i32 s35, s34, 31
	v_mad_u64_u32 v[0:1], s[6:7], s2, v3, v[0:1]
	v_mul_f32_e32 v2, 0x4f7ffffe, v2
	v_cvt_u32_f32_e32 v2, v2
	v_cmp_gt_i64_e32 vcc, s[34:35], v[0:1]
	v_readfirstlane_b32 s3, v2
	s_and_saveexec_b64 s[6:7], vcc
	s_cbranch_execz .LBB21_18
; %bb.1:
	s_load_dwordx4 s[24:27], s[4:5], 0xc
	s_load_dwordx2 s[40:41], s[4:5], 0x0
	s_sub_i32 s8, 0, s33
	s_mul_i32 s9, s8, s3
	s_mul_hi_u32 s9, s3, s9
	s_waitcnt lgkmcnt(0)
	s_abs_i32 s7, s24
	s_add_i32 s3, s3, s9
	s_mul_hi_u32 s3, s7, s3
	s_mul_i32 s9, s3, s33
	s_ashr_i32 s20, s21, 31
	s_ashr_i32 s6, s24, 31
	s_sub_i32 s7, s7, s9
	s_xor_b32 s6, s6, s20
	s_add_i32 s9, s3, 1
	s_sub_i32 s28, s7, s33
	s_cmp_ge_u32 s7, s33
	s_cselect_b32 s3, s9, s3
	s_cselect_b32 s7, s28, s7
	s_add_i32 s9, s3, 1
	s_load_dwordx4 s[28:31], s[4:5], 0x70
	s_load_dword s65, s[4:5], 0x7c
	s_cmp_ge_u32 s7, s33
	s_cselect_b32 s3, s9, s3
	s_xor_b32 s3, s3, s6
	s_waitcnt lgkmcnt(0)
	s_sub_i32 s31, s3, s6
	s_cmp_gt_i32 s28, 0
	s_cselect_b64 s[42:43], -1, 0
	s_cmp_gt_i32 s29, 0
	s_cselect_b64 s[44:45], -1, 0
	;; [unrolled: 2-line block ×3, first 2 shown]
	s_abs_i32 s66, s10
	v_cvt_f32_u32_e32 v3, s66
	s_abs_i32 s69, s23
	v_cvt_f32_u32_e32 v4, s69
	s_load_dwordx8 s[12:19], s[4:5], 0x90
	s_load_dword s24, s[4:5], 0xb0
	v_rcp_iflag_f32_e32 v3, v3
	s_load_dword s3, s[0:1], 0x0
	s_load_dwordx2 s[48:49], s[4:5], 0x1c
	s_load_dwordx2 s[50:51], s[4:5], 0x30
	s_sub_i32 s0, 0, s66
	s_abs_i32 s70, s22
	v_mul_f32_e32 v3, 0x4f7ffffe, v3
	v_cvt_u32_f32_e32 v3, v3
	v_rcp_iflag_f32_e32 v6, v4
	s_waitcnt lgkmcnt(0)
	s_abs_i32 s73, s12
	v_cvt_f32_u32_e32 v7, s73
	v_mul_lo_u32 v5, s0, v3
	v_mul_hi_u32 v5, v3, v5
	v_add_u32_e32 v4, v3, v5
	v_cvt_f32_u32_e32 v3, s70
	v_mul_f32_e32 v5, 0x4f7ffffe, v6
	v_cvt_u32_f32_e32 v5, v5
	s_sub_i32 s0, 0, s69
	v_rcp_iflag_f32_e32 v3, v3
	v_rcp_iflag_f32_e32 v8, v7
	v_mul_lo_u32 v6, s0, v5
	v_mul_hi_u32 v6, v5, v6
	v_mul_f32_e32 v3, 0x4f7ffffe, v3
	v_cvt_u32_f32_e32 v3, v3
	s_sub_i32 s0, 0, s70
	v_add_u32_e32 v5, v5, v6
	s_abs_i32 s75, s13
	v_mul_lo_u32 v6, s0, v3
	v_mul_hi_u32 v6, v3, v6
	v_add_u32_e32 v6, v3, v6
	v_mul_lo_u32 v3, s8, v2
	v_mul_hi_u32 v3, v2, v3
	v_add_u32_e32 v7, v2, v3
	v_mul_f32_e32 v2, 0x4f7ffffe, v8
	v_cvt_u32_f32_e32 v2, v2
	s_sub_i32 s0, 0, s73
	v_cvt_f32_u32_e32 v3, s75
	s_abs_i32 s76, s14
	v_mul_lo_u32 v8, s0, v2
	v_mul_hi_u32 v8, v2, v8
	v_add_u32_e32 v8, v2, v8
	v_cvt_f32_u32_e32 v2, s76
	v_rcp_iflag_f32_e32 v3, v3
	s_sub_i32 s0, 0, s75
	s_load_dwordx2 s[52:53], s[4:5], 0x60
	s_load_dwordx4 s[36:39], s[4:5], 0x50
	v_rcp_iflag_f32_e32 v2, v2
	v_mul_f32_e32 v3, 0x4f7ffffe, v3
	v_cvt_u32_f32_e32 v3, v3
	s_mov_b32 s64, 0
	v_mul_f32_e32 v2, 0x4f7ffffe, v2
	v_cvt_u32_f32_e32 v2, v2
	v_mul_lo_u32 v9, s0, v3
	v_mul_hi_u32 v9, v3, v9
	s_sub_i32 s0, 0, s76
	v_add_u32_e32 v9, v3, v9
	v_mul_lo_u32 v3, s0, v2
	v_mul_hi_u32 v3, v2, v3
	s_mul_i32 s67, s3, s2
	s_ashr_i32 s68, s10, 31
	s_ashr_i32 s71, s23, 31
	;; [unrolled: 1-line block ×6, first 2 shown]
	v_add_u32_e32 v10, v2, v3
	s_mov_b64 s[54:55], 0
	s_branch .LBB21_4
.LBB21_2:                               ;   in Loop: Header=BB21_4 Depth=1
	s_or_b64 exec, exec, s[58:59]
.LBB21_3:                               ;   in Loop: Header=BB21_4 Depth=1
	s_or_b64 exec, exec, s[56:57]
	v_mul_lo_u32 v2, v16, s11
	v_ashrrev_i32_e32 v3, 31, v2
	v_lshlrev_b64 v[2:3], 2, v[2:3]
	v_mov_b32_e32 v16, s51
	v_add_co_u32_e32 v17, vcc, s50, v2
	s_waitcnt lgkmcnt(0)
	v_mul_lo_u32 v2, s36, v15
	v_addc_co_u32_e32 v16, vcc, v16, v3, vcc
	v_ashrrev_i32_e32 v3, 31, v2
	v_lshlrev_b64 v[2:3], 2, v[2:3]
	v_add_co_u32_e32 v15, vcc, v17, v2
	v_mul_lo_u32 v2, s37, v13
	v_addc_co_u32_e32 v16, vcc, v16, v3, vcc
	v_ashrrev_i32_e32 v3, 31, v2
	v_lshlrev_b64 v[2:3], 2, v[2:3]
	v_add_co_u32_e32 v13, vcc, v15, v2
	;; [unrolled: 5-line block ×4, first 2 shown]
	v_addc_co_u32_e32 v3, vcc, v13, v3, vcc
	v_mov_b32_e32 v11, s64
	v_add_co_u32_e32 v0, vcc, s67, v0
	v_addc_co_u32_e32 v1, vcc, v1, v11, vcc
	v_cmp_le_i64_e32 vcc, s[34:35], v[0:1]
	s_or_b64 s[54:55], vcc, s[54:55]
	global_store_dword v[2:3], v14, off
	s_andn2_b64 exec, exec, s[54:55]
	s_cbranch_execz .LBB21_18
.LBB21_4:                               ; =>This Loop Header: Depth=1
                                        ;     Child Loop BB21_7 Depth 2
                                        ;       Child Loop BB21_10 Depth 3
                                        ;         Child Loop BB21_13 Depth 4
                                        ;           Child Loop BB21_16 Depth 5
	v_sub_u32_e32 v3, 0, v0
	v_max_i32_e32 v3, v0, v3
	v_mul_hi_u32 v11, v3, v4
	v_mul_lo_u32 v12, v11, s66
	v_sub_u32_e32 v3, v3, v12
	v_add_u32_e32 v12, 1, v11
	v_cmp_le_u32_e32 vcc, s66, v3
	v_cndmask_b32_e32 v11, v11, v12, vcc
	v_subrev_u32_e32 v12, s66, v3
	v_cndmask_b32_e32 v3, v3, v12, vcc
	v_ashrrev_i32_e32 v2, 31, v0
	v_add_u32_e32 v12, 1, v11
	v_cmp_le_u32_e32 vcc, s66, v3
	v_xor_b32_e32 v2, s68, v2
	v_cndmask_b32_e32 v3, v11, v12, vcc
	v_xor_b32_e32 v3, v3, v2
	v_sub_u32_e32 v2, v3, v2
	v_sub_u32_e32 v12, 0, v2
	v_max_i32_e32 v12, v2, v12
	v_mul_hi_u32 v13, v12, v5
	v_mul_lo_u32 v14, v13, s69
	v_sub_u32_e32 v12, v12, v14
	v_add_u32_e32 v14, 1, v13
	v_cmp_le_u32_e32 vcc, s69, v12
	v_cndmask_b32_e32 v13, v13, v14, vcc
	v_subrev_u32_e32 v14, s69, v12
	v_mul_lo_u32 v3, v2, s10
	v_cndmask_b32_e32 v12, v12, v14, vcc
	v_sub_u32_e32 v11, v0, v3
	v_ashrrev_i32_e32 v3, 31, v2
	v_add_u32_e32 v14, 1, v13
	v_cmp_le_u32_e32 vcc, s69, v12
	v_xor_b32_e32 v3, s71, v3
	v_cndmask_b32_e32 v12, v13, v14, vcc
	v_xor_b32_e32 v12, v12, v3
	v_sub_u32_e32 v3, v12, v3
	v_sub_u32_e32 v13, 0, v3
	v_max_i32_e32 v13, v3, v13
	v_mul_hi_u32 v14, v13, v6
	v_mul_lo_u32 v15, v14, s70
	v_sub_u32_e32 v13, v13, v15
	v_add_u32_e32 v15, 1, v14
	v_cmp_le_u32_e32 vcc, s70, v13
	v_cndmask_b32_e32 v14, v14, v15, vcc
	v_subrev_u32_e32 v15, s70, v13
	v_mul_lo_u32 v12, v3, s23
	v_cndmask_b32_e32 v13, v13, v15, vcc
	v_sub_u32_e32 v12, v2, v12
	;; [unrolled: 19-line block ×3, first 2 shown]
	v_ashrrev_i32_e32 v3, 31, v2
	v_add_u32_e32 v16, 1, v15
	v_cmp_le_u32_e32 vcc, s33, v14
	v_xor_b32_e32 v3, s20, v3
	v_cndmask_b32_e32 v14, v15, v16, vcc
	v_xor_b32_e32 v14, v14, v3
	v_sub_u32_e32 v16, v14, v3
	v_mul_lo_u32 v3, v16, s21
	v_sub_u32_e32 v15, v2, v3
	v_mul_lo_u32 v17, v15, s31
	v_add_u32_e32 v18, s31, v17
	v_cmp_lt_i32_e32 vcc, v17, v18
	v_mov_b32_e32 v14, 0
	s_and_saveexec_b64 s[56:57], vcc
	s_cbranch_execz .LBB21_3
; %bb.5:                                ;   in Loop: Header=BB21_4 Depth=1
	v_mul_lo_u32 v2, s65, v17
	v_ashrrev_i32_e32 v3, 31, v2
	v_lshlrev_b64 v[2:3], 2, v[2:3]
	v_mul_lo_u32 v22, s48, v16
	s_waitcnt lgkmcnt(0)
	v_mov_b32_e32 v14, s53
	v_add_co_u32_e32 v2, vcc, s52, v2
	v_ashrrev_i32_e32 v23, 31, v22
	v_addc_co_u32_e32 v3, vcc, v14, v3, vcc
	v_lshlrev_b64 v[22:23], 2, v[22:23]
	v_mov_b32_e32 v14, s41
	v_add_co_u32_e32 v22, vcc, s40, v22
	v_add_u32_e32 v19, s17, v11
	v_add_u32_e32 v20, s16, v12
	;; [unrolled: 1-line block ×3, first 2 shown]
	v_addc_co_u32_e32 v23, vcc, v14, v23, vcc
	s_mov_b64 s[58:59], 0
	v_mov_b32_e32 v14, 0
	s_branch .LBB21_7
.LBB21_6:                               ;   in Loop: Header=BB21_7 Depth=2
	v_add_u32_e32 v17, 1, v17
	v_cmp_eq_u32_e32 vcc, v17, v18
	s_or_b64 s[58:59], vcc, s[58:59]
	s_andn2_b64 exec, exec, s[58:59]
	s_cbranch_execz .LBB21_2
.LBB21_7:                               ;   Parent Loop BB21_4 Depth=1
                                        ; =>  This Loop Header: Depth=2
                                        ;       Child Loop BB21_10 Depth 3
                                        ;         Child Loop BB21_13 Depth 4
                                        ;           Child Loop BB21_16 Depth 5
	s_andn2_b64 vcc, exec, s[42:43]
	s_cbranch_vccnz .LBB21_6
; %bb.8:                                ;   in Loop: Header=BB21_7 Depth=2
	v_mul_lo_u32 v24, s49, v17
	v_ashrrev_i32_e32 v25, 31, v24
	v_lshlrev_b64 v[24:25], 2, v[24:25]
	v_add_co_u32_e32 v24, vcc, v22, v24
	v_addc_co_u32_e32 v25, vcc, v23, v25, vcc
	s_mov_b32 s79, 0
	s_branch .LBB21_10
.LBB21_9:                               ;   in Loop: Header=BB21_10 Depth=3
	s_add_i32 s79, s79, 1
	s_cmp_eq_u32 s79, s28
	s_cbranch_scc1 .LBB21_6
.LBB21_10:                              ;   Parent Loop BB21_4 Depth=1
                                        ;     Parent Loop BB21_7 Depth=2
                                        ; =>    This Loop Header: Depth=3
                                        ;         Child Loop BB21_13 Depth 4
                                        ;           Child Loop BB21_16 Depth 5
	s_andn2_b64 vcc, exec, s[44:45]
	s_cbranch_vccnz .LBB21_9
; %bb.11:                               ;   in Loop: Header=BB21_10 Depth=3
	s_mul_i32 s0, s79, s18
	v_subrev_u32_e32 v27, s0, v21
	v_sub_u32_e32 v28, 0, v27
	v_max_i32_e32 v28, v27, v28
	v_mul_hi_u32 v29, v28, v8
	v_mul_lo_u32 v30, v29, s73
	v_sub_u32_e32 v28, v28, v30
	v_add_u32_e32 v30, 1, v29
	v_cmp_le_u32_e32 vcc, s73, v28
	v_cndmask_b32_e32 v29, v29, v30, vcc
	v_subrev_u32_e32 v30, s73, v28
	v_cndmask_b32_e32 v28, v28, v30, vcc
	v_ashrrev_i32_e32 v26, 31, v27
	v_add_u32_e32 v30, 1, v29
	v_cmp_le_u32_e32 vcc, s73, v28
	v_xor_b32_e32 v26, s74, v26
	v_cndmask_b32_e32 v28, v29, v30, vcc
	v_xor_b32_e32 v28, v28, v26
	v_sub_u32_e32 v28, v28, v26
	v_cmp_lt_i32_e64 s[0:1], -1, v28
	v_cmp_gt_i32_e64 s[2:3], s25, v28
	v_mul_lo_u32 v26, v28, s26
	v_mul_lo_u32 v28, v28, s12
	s_mov_b32 s80, 0
	v_cmp_eq_u32_e64 s[4:5], v28, v27
	s_branch .LBB21_13
.LBB21_12:                              ;   in Loop: Header=BB21_13 Depth=4
	s_add_i32 s80, s80, 1
	s_cmp_eq_u32 s80, s29
	s_cbranch_scc1 .LBB21_9
.LBB21_13:                              ;   Parent Loop BB21_4 Depth=1
                                        ;     Parent Loop BB21_7 Depth=2
                                        ;       Parent Loop BB21_10 Depth=3
                                        ; =>      This Loop Header: Depth=4
                                        ;           Child Loop BB21_16 Depth 5
	s_andn2_b64 vcc, exec, s[46:47]
	s_cbranch_vccnz .LBB21_12
; %bb.14:                               ;   in Loop: Header=BB21_13 Depth=4
	s_mul_i32 s6, s80, s19
	v_subrev_u32_e32 v28, s6, v20
	v_sub_u32_e32 v29, 0, v28
	v_max_i32_e32 v29, v28, v29
	v_mul_hi_u32 v30, v29, v9
	v_mul_lo_u32 v31, v30, s75
	v_sub_u32_e32 v29, v29, v31
	v_add_u32_e32 v31, 1, v30
	v_cmp_le_u32_e32 vcc, s75, v29
	v_cndmask_b32_e32 v30, v30, v31, vcc
	v_subrev_u32_e32 v31, s75, v29
	v_cndmask_b32_e32 v29, v29, v31, vcc
	v_ashrrev_i32_e32 v27, 31, v28
	v_add_u32_e32 v31, 1, v30
	v_cmp_le_u32_e32 vcc, s75, v29
	v_xor_b32_e32 v27, s77, v27
	v_cndmask_b32_e32 v29, v30, v31, vcc
	v_xor_b32_e32 v29, v29, v27
	v_sub_u32_e32 v29, v29, v27
	v_cmp_lt_i32_e32 vcc, -1, v29
	v_cmp_gt_i32_e64 s[6:7], s26, v29
	v_add_u32_e32 v27, v29, v26
	v_mul_lo_u32 v29, v29, s13
	v_cmp_eq_u32_e64 s[8:9], v29, v28
	v_mul_lo_u32 v27, v27, s27
	s_and_b64 s[60:61], s[4:5], s[8:9]
	s_mov_b32 s81, s30
	v_mov_b32_e32 v28, v19
	s_branch .LBB21_16
.LBB21_15:                              ;   in Loop: Header=BB21_16 Depth=5
	s_or_b64 exec, exec, s[62:63]
	v_add_co_u32_e64 v2, s[8:9], 4, v2
	v_addc_co_u32_e64 v3, s[8:9], 0, v3, s[8:9]
	v_mul_lo_u32 v30, v30, s14
	v_cmp_eq_u32_e64 s[8:9], v28, v30
	s_waitcnt vmcnt(0)
	v_fma_f32 v29, v29, v31, v14
	s_and_b64 s[8:9], s[60:61], s[8:9]
	s_add_i32 s81, s81, -1
	v_cndmask_b32_e64 v14, v14, v29, s[8:9]
	s_cmp_eq_u32 s81, 0
	v_subrev_u32_e32 v28, s24, v28
	s_cbranch_scc1 .LBB21_12
.LBB21_16:                              ;   Parent Loop BB21_4 Depth=1
                                        ;     Parent Loop BB21_7 Depth=2
                                        ;       Parent Loop BB21_10 Depth=3
                                        ;         Parent Loop BB21_13 Depth=4
                                        ; =>        This Inner Loop Header: Depth=5
	global_load_dword v29, v[2:3], off
	v_sub_u32_e32 v31, 0, v28
	v_max_i32_e32 v31, v28, v31
	v_mul_hi_u32 v32, v31, v10
	v_mul_lo_u32 v33, v32, s76
	v_sub_u32_e32 v31, v31, v33
	v_add_u32_e32 v33, 1, v32
	v_cmp_le_u32_e64 s[8:9], s76, v31
	v_cndmask_b32_e64 v32, v32, v33, s[8:9]
	v_subrev_u32_e32 v33, s76, v31
	v_cndmask_b32_e64 v31, v31, v33, s[8:9]
	v_ashrrev_i32_e32 v30, 31, v28
	v_add_u32_e32 v33, 1, v32
	v_cmp_le_u32_e64 s[8:9], s76, v31
	v_xor_b32_e32 v30, s78, v30
	v_cndmask_b32_e64 v31, v32, v33, s[8:9]
	v_xor_b32_e32 v31, v31, v30
	v_sub_u32_e32 v30, v31, v30
	v_cmp_lt_i32_e64 s[8:9], -1, v30
	s_and_b64 s[8:9], s[8:9], vcc
	s_and_b64 s[62:63], s[8:9], s[0:1]
	v_cmp_gt_i32_e64 s[8:9], s27, v30
	s_and_b64 s[8:9], s[8:9], s[62:63]
	s_and_b64 s[8:9], s[8:9], s[6:7]
	;; [unrolled: 1-line block ×3, first 2 shown]
	v_mov_b32_e32 v31, 0
	s_and_saveexec_b64 s[62:63], s[8:9]
	s_cbranch_execz .LBB21_15
; %bb.17:                               ;   in Loop: Header=BB21_16 Depth=5
	v_add_u32_e32 v32, v30, v27
	v_ashrrev_i32_e32 v33, 31, v32
	v_lshlrev_b64 v[32:33], 2, v[32:33]
	v_add_co_u32_e64 v32, s[8:9], v24, v32
	v_addc_co_u32_e64 v33, s[8:9], v25, v33, s[8:9]
	global_load_dword v31, v[32:33], off
	s_branch .LBB21_15
.LBB21_18:
	s_endpgm
	.section	.rodata,"a",@progbits
	.p2align	6, 0x0
	.amdhsa_kernel _ZN2at6native12_GLOBAL__N_143conv_depthwise3d_cuda_backward_input_kernelIffLin1ELin1ELin1ELin1ELin1ELin1ELin1ELin1ELin1EEEvN5torch10headeronly6detail27GenericPackedTensorAccessorINS5_14TensorAccessorIN3c108ArrayRefIlEEKT_Lm4ENS4_16DefaultPtrTraitsEiEENS_6detail16IndexBoundsCheckILm5EiEESC_Lm5ESD_iEENS6_INS7_ISA_SB_Lm4ESD_iEESH_SB_Lm5ESD_iEESI_iiiiiiiii
		.amdhsa_group_segment_fixed_size 0
		.amdhsa_private_segment_fixed_size 0
		.amdhsa_kernarg_size 440
		.amdhsa_user_sgpr_count 6
		.amdhsa_user_sgpr_private_segment_buffer 1
		.amdhsa_user_sgpr_dispatch_ptr 0
		.amdhsa_user_sgpr_queue_ptr 0
		.amdhsa_user_sgpr_kernarg_segment_ptr 1
		.amdhsa_user_sgpr_dispatch_id 0
		.amdhsa_user_sgpr_flat_scratch_init 0
		.amdhsa_user_sgpr_kernarg_preload_length 0
		.amdhsa_user_sgpr_kernarg_preload_offset 0
		.amdhsa_user_sgpr_private_segment_size 0
		.amdhsa_uses_dynamic_stack 0
		.amdhsa_system_sgpr_private_segment_wavefront_offset 0
		.amdhsa_system_sgpr_workgroup_id_x 1
		.amdhsa_system_sgpr_workgroup_id_y 0
		.amdhsa_system_sgpr_workgroup_id_z 0
		.amdhsa_system_sgpr_workgroup_info 0
		.amdhsa_system_vgpr_workitem_id 0
		.amdhsa_next_free_vgpr 34
		.amdhsa_next_free_sgpr 82
		.amdhsa_accum_offset 36
		.amdhsa_reserve_vcc 1
		.amdhsa_reserve_flat_scratch 0
		.amdhsa_float_round_mode_32 0
		.amdhsa_float_round_mode_16_64 0
		.amdhsa_float_denorm_mode_32 3
		.amdhsa_float_denorm_mode_16_64 3
		.amdhsa_dx10_clamp 1
		.amdhsa_ieee_mode 1
		.amdhsa_fp16_overflow 0
		.amdhsa_tg_split 0
		.amdhsa_exception_fp_ieee_invalid_op 0
		.amdhsa_exception_fp_denorm_src 0
		.amdhsa_exception_fp_ieee_div_zero 0
		.amdhsa_exception_fp_ieee_overflow 0
		.amdhsa_exception_fp_ieee_underflow 0
		.amdhsa_exception_fp_ieee_inexact 0
		.amdhsa_exception_int_div_zero 0
	.end_amdhsa_kernel
	.section	.text._ZN2at6native12_GLOBAL__N_143conv_depthwise3d_cuda_backward_input_kernelIffLin1ELin1ELin1ELin1ELin1ELin1ELin1ELin1ELin1EEEvN5torch10headeronly6detail27GenericPackedTensorAccessorINS5_14TensorAccessorIN3c108ArrayRefIlEEKT_Lm4ENS4_16DefaultPtrTraitsEiEENS_6detail16IndexBoundsCheckILm5EiEESC_Lm5ESD_iEENS6_INS7_ISA_SB_Lm4ESD_iEESH_SB_Lm5ESD_iEESI_iiiiiiiii,"axG",@progbits,_ZN2at6native12_GLOBAL__N_143conv_depthwise3d_cuda_backward_input_kernelIffLin1ELin1ELin1ELin1ELin1ELin1ELin1ELin1ELin1EEEvN5torch10headeronly6detail27GenericPackedTensorAccessorINS5_14TensorAccessorIN3c108ArrayRefIlEEKT_Lm4ENS4_16DefaultPtrTraitsEiEENS_6detail16IndexBoundsCheckILm5EiEESC_Lm5ESD_iEENS6_INS7_ISA_SB_Lm4ESD_iEESH_SB_Lm5ESD_iEESI_iiiiiiiii,comdat
.Lfunc_end21:
	.size	_ZN2at6native12_GLOBAL__N_143conv_depthwise3d_cuda_backward_input_kernelIffLin1ELin1ELin1ELin1ELin1ELin1ELin1ELin1ELin1EEEvN5torch10headeronly6detail27GenericPackedTensorAccessorINS5_14TensorAccessorIN3c108ArrayRefIlEEKT_Lm4ENS4_16DefaultPtrTraitsEiEENS_6detail16IndexBoundsCheckILm5EiEESC_Lm5ESD_iEENS6_INS7_ISA_SB_Lm4ESD_iEESH_SB_Lm5ESD_iEESI_iiiiiiiii, .Lfunc_end21-_ZN2at6native12_GLOBAL__N_143conv_depthwise3d_cuda_backward_input_kernelIffLin1ELin1ELin1ELin1ELin1ELin1ELin1ELin1ELin1EEEvN5torch10headeronly6detail27GenericPackedTensorAccessorINS5_14TensorAccessorIN3c108ArrayRefIlEEKT_Lm4ENS4_16DefaultPtrTraitsEiEENS_6detail16IndexBoundsCheckILm5EiEESC_Lm5ESD_iEENS6_INS7_ISA_SB_Lm4ESD_iEESH_SB_Lm5ESD_iEESI_iiiiiiiii
                                        ; -- End function
	.section	.AMDGPU.csdata,"",@progbits
; Kernel info:
; codeLenInByte = 1984
; NumSgprs: 86
; NumVgprs: 34
; NumAgprs: 0
; TotalNumVgprs: 34
; ScratchSize: 0
; MemoryBound: 0
; FloatMode: 240
; IeeeMode: 1
; LDSByteSize: 0 bytes/workgroup (compile time only)
; SGPRBlocks: 10
; VGPRBlocks: 4
; NumSGPRsForWavesPerEU: 86
; NumVGPRsForWavesPerEU: 34
; AccumOffset: 36
; Occupancy: 8
; WaveLimiterHint : 0
; COMPUTE_PGM_RSRC2:SCRATCH_EN: 0
; COMPUTE_PGM_RSRC2:USER_SGPR: 6
; COMPUTE_PGM_RSRC2:TRAP_HANDLER: 0
; COMPUTE_PGM_RSRC2:TGID_X_EN: 1
; COMPUTE_PGM_RSRC2:TGID_Y_EN: 0
; COMPUTE_PGM_RSRC2:TGID_Z_EN: 0
; COMPUTE_PGM_RSRC2:TIDIG_COMP_CNT: 0
; COMPUTE_PGM_RSRC3_GFX90A:ACCUM_OFFSET: 8
; COMPUTE_PGM_RSRC3_GFX90A:TG_SPLIT: 0
	.section	.text._ZN2at6native12_GLOBAL__N_143conv_depthwise3d_cuda_backward_input_kernelIN3c104HalfEfLi3ELi3ELi3ELi1ELi1ELi1ELi1ELi1ELi1EEEvN5torch10headeronly6detail27GenericPackedTensorAccessorINS7_14TensorAccessorINS3_8ArrayRefIlEEKT_Lm4ENS6_16DefaultPtrTraitsEiEENS_6detail16IndexBoundsCheckILm5EiEESD_Lm5ESE_iEENS8_INS9_ISB_SC_Lm4ESE_iEESI_SC_Lm5ESE_iEESJ_iiiiiiiii,"axG",@progbits,_ZN2at6native12_GLOBAL__N_143conv_depthwise3d_cuda_backward_input_kernelIN3c104HalfEfLi3ELi3ELi3ELi1ELi1ELi1ELi1ELi1ELi1EEEvN5torch10headeronly6detail27GenericPackedTensorAccessorINS7_14TensorAccessorINS3_8ArrayRefIlEEKT_Lm4ENS6_16DefaultPtrTraitsEiEENS_6detail16IndexBoundsCheckILm5EiEESD_Lm5ESE_iEENS8_INS9_ISB_SC_Lm4ESE_iEESI_SC_Lm5ESE_iEESJ_iiiiiiiii,comdat
	.globl	_ZN2at6native12_GLOBAL__N_143conv_depthwise3d_cuda_backward_input_kernelIN3c104HalfEfLi3ELi3ELi3ELi1ELi1ELi1ELi1ELi1ELi1EEEvN5torch10headeronly6detail27GenericPackedTensorAccessorINS7_14TensorAccessorINS3_8ArrayRefIlEEKT_Lm4ENS6_16DefaultPtrTraitsEiEENS_6detail16IndexBoundsCheckILm5EiEESD_Lm5ESE_iEENS8_INS9_ISB_SC_Lm4ESE_iEESI_SC_Lm5ESE_iEESJ_iiiiiiiii ; -- Begin function _ZN2at6native12_GLOBAL__N_143conv_depthwise3d_cuda_backward_input_kernelIN3c104HalfEfLi3ELi3ELi3ELi1ELi1ELi1ELi1ELi1ELi1EEEvN5torch10headeronly6detail27GenericPackedTensorAccessorINS7_14TensorAccessorINS3_8ArrayRefIlEEKT_Lm4ENS6_16DefaultPtrTraitsEiEENS_6detail16IndexBoundsCheckILm5EiEESD_Lm5ESE_iEENS8_INS9_ISB_SC_Lm4ESE_iEESI_SC_Lm5ESE_iEESJ_iiiiiiiii
	.p2align	8
	.type	_ZN2at6native12_GLOBAL__N_143conv_depthwise3d_cuda_backward_input_kernelIN3c104HalfEfLi3ELi3ELi3ELi1ELi1ELi1ELi1ELi1ELi1EEEvN5torch10headeronly6detail27GenericPackedTensorAccessorINS7_14TensorAccessorINS3_8ArrayRefIlEEKT_Lm4ENS6_16DefaultPtrTraitsEiEENS_6detail16IndexBoundsCheckILm5EiEESD_Lm5ESE_iEENS8_INS9_ISB_SC_Lm4ESE_iEESI_SC_Lm5ESE_iEESJ_iiiiiiiii,@function
_ZN2at6native12_GLOBAL__N_143conv_depthwise3d_cuda_backward_input_kernelIN3c104HalfEfLi3ELi3ELi3ELi1ELi1ELi1ELi1ELi1ELi1EEEvN5torch10headeronly6detail27GenericPackedTensorAccessorINS7_14TensorAccessorINS3_8ArrayRefIlEEKT_Lm4ENS6_16DefaultPtrTraitsEiEENS_6detail16IndexBoundsCheckILm5EiEESD_Lm5ESE_iEENS8_INS9_ISB_SC_Lm4ESE_iEESI_SC_Lm5ESE_iEESJ_iiiiiiiii: ; @_ZN2at6native12_GLOBAL__N_143conv_depthwise3d_cuda_backward_input_kernelIN3c104HalfEfLi3ELi3ELi3ELi1ELi1ELi1ELi1ELi1ELi1EEEvN5torch10headeronly6detail27GenericPackedTensorAccessorINS7_14TensorAccessorINS3_8ArrayRefIlEEKT_Lm4ENS6_16DefaultPtrTraitsEiEENS_6detail16IndexBoundsCheckILm5EiEESD_Lm5ESE_iEENS8_INS9_ISB_SC_Lm4ESE_iEESI_SC_Lm5ESE_iEESJ_iiiiiiiii
; %bb.0:
	s_load_dwordx4 s[16:19], s[4:5], 0x38
	s_load_dwordx2 s[14:15], s[4:5], 0x48
	s_mov_b64 s[98:99], s[2:3]
	s_mov_b64 s[96:97], s[0:1]
	s_add_u32 s96, s96, s7
	s_addc_u32 s97, s97, 0
	s_waitcnt lgkmcnt(0)
	s_abs_i32 s33, s17
	v_cvt_f32_u32_e32 v2, s33
	s_load_dword s2, s[4:5], 0xc4
	s_add_u32 s0, s4, 0xb8
	v_mov_b32_e32 v1, 0
	v_rcp_iflag_f32_e32 v2, v2
	v_mov_b32_e32 v3, s6
	s_mul_i32 s34, s15, s16
	s_addc_u32 s1, s5, 0
	v_mul_f32_e32 v2, 0x4f7ffffe, v2
	v_cvt_u32_f32_e32 v2, v2
	s_waitcnt lgkmcnt(0)
	s_and_b32 s2, s2, 0xffff
	s_ashr_i32 s35, s34, 31
	v_mad_u64_u32 v[0:1], s[6:7], s2, v3, v[0:1]
	v_readfirstlane_b32 s3, v2
	v_cmp_gt_i64_e32 vcc, s[34:35], v[0:1]
	s_and_saveexec_b64 s[6:7], vcc
	s_cbranch_execz .LBB22_60
; %bb.1:
	s_load_dwordx4 s[20:23], s[4:5], 0xc
	s_load_dwordx2 s[6:7], s[4:5], 0x0
	s_sub_i32 s8, 0, s33
                                        ; implicit-def: $vgpr127 : SGPR spill to VGPR lane
	s_mul_i32 s9, s8, s3
	s_mul_hi_u32 s9, s3, s9
	s_add_i32 s3, s3, s9
	s_waitcnt lgkmcnt(0)
	v_writelane_b32 v127, s6, 0
	v_writelane_b32 v127, s7, 1
	s_abs_i32 s7, s20
	s_mul_hi_u32 s3, s7, s3
	s_mul_i32 s9, s3, s33
	s_ashr_i32 s16, s17, 31
	s_ashr_i32 s6, s20, 31
	s_sub_i32 s7, s7, s9
	s_xor_b32 s6, s6, s16
	s_add_i32 s9, s3, 1
	s_sub_i32 s10, s7, s33
	s_cmp_ge_u32 s7, s33
	s_cselect_b32 s3, s9, s3
	s_cselect_b32 s7, s10, s7
	s_add_i32 s9, s3, 1
	s_cmp_ge_u32 s7, s33
	s_cselect_b32 s3, s9, s3
	s_abs_i32 s93, s14
	v_cvt_f32_u32_e32 v3, s93
	s_load_dword s0, s[0:1], 0x0
	s_abs_i32 s27, s19
	v_cvt_f32_u32_e32 v4, s27
	v_rcp_iflag_f32_e32 v3, v3
	s_abs_i32 s92, s18
	s_waitcnt lgkmcnt(0)
	s_mul_i32 s94, s0, s2
	s_sub_i32 s0, 0, s93
	v_mul_f32_e32 v3, 0x4f7ffffe, v3
	v_cvt_u32_f32_e32 v3, v3
	s_load_dwordx2 s[38:39], s[4:5], 0x1c
	s_load_dwordx2 s[40:41], s[4:5], 0x30
	v_rcp_iflag_f32_e32 v4, v4
	s_load_dwordx4 s[28:31], s[4:5], 0x9c
	s_load_dword s1, s[4:5], 0x7c
	v_mul_lo_u32 v5, s0, v3
	v_mul_hi_u32 v5, v3, v5
	v_add_u32_e32 v3, v3, v5
	buffer_store_dword v3, off, s[96:99], 0 ; 4-byte Folded Spill
	v_cvt_f32_u32_e32 v3, s92
	v_mul_f32_e32 v4, 0x4f7ffffe, v4
	v_cvt_u32_f32_e32 v4, v4
	s_sub_i32 s0, 0, s27
	v_rcp_iflag_f32_e32 v3, v3
	s_xor_b32 s3, s3, s6
	s_waitcnt lgkmcnt(0)
	v_writelane_b32 v127, s28, 2
	v_mul_lo_u32 v5, s0, v4
	v_mul_f32_e32 v3, 0x4f7ffffe, v3
	v_cvt_u32_f32_e32 v3, v3
	s_sub_i32 s20, s3, s6
	v_writelane_b32 v127, s29, 3
	s_load_dwordx2 s[6:7], s[4:5], 0x60
	v_mul_hi_u32 v5, v4, v5
	v_writelane_b32 v127, s30, 4
	v_add_u32_e32 v4, v4, v5
	s_sub_i32 s0, 0, s92
	v_writelane_b32 v127, s31, 5
	s_load_dwordx4 s[28:31], s[4:5], 0x50
	buffer_store_dword v4, off, s[96:99], 0 offset:4 ; 4-byte Folded Spill
	v_mul_lo_u32 v4, s0, v3
	v_mul_hi_u32 v4, v3, v4
	v_writelane_b32 v127, s1, 6
	v_add_u32_e32 v62, v3, v4
	v_mul_lo_u32 v3, s8, v2
	s_waitcnt lgkmcnt(0)
	v_writelane_b32 v127, s6, 7
	v_mul_hi_u32 v3, v2, v3
	s_mov_b32 s26, 0
	v_writelane_b32 v127, s7, 8
	s_ashr_i32 s95, s14, 31
	s_ashr_i32 s36, s19, 31
	;; [unrolled: 1-line block ×3, first 2 shown]
	v_add_u32_e32 v63, v2, v3
	s_mov_b64 s[44:45], 0
                                        ; kill: killed $sgpr4 killed $sgpr5
	s_branch .LBB22_3
.LBB22_2:                               ;   in Loop: Header=BB22_3 Depth=1
	s_or_b64 exec, exec, s[46:47]
	v_mul_lo_u32 v2, v68, s15
	v_ashrrev_i32_e32 v3, 31, v2
	v_lshlrev_b64 v[2:3], 1, v[2:3]
	v_mov_b32_e32 v5, s41
	v_add_co_u32_e32 v6, vcc, s40, v2
	v_mul_lo_u32 v2, s28, v67
	v_addc_co_u32_e32 v5, vcc, v5, v3, vcc
	v_ashrrev_i32_e32 v3, 31, v2
	v_lshlrev_b64 v[2:3], 1, v[2:3]
	v_add_co_u32_e32 v6, vcc, v6, v2
	v_mul_lo_u32 v2, s29, v66
	v_addc_co_u32_e32 v5, vcc, v5, v3, vcc
	v_ashrrev_i32_e32 v3, 31, v2
	v_lshlrev_b64 v[2:3], 1, v[2:3]
	;; [unrolled: 5-line block ×4, first 2 shown]
	v_add_co_u32_e32 v2, vcc, v6, v2
	v_addc_co_u32_e32 v3, vcc, v5, v3, vcc
	v_cvt_f16_f32_e32 v4, v71
	v_mov_b32_e32 v5, s26
	v_add_co_u32_e32 v0, vcc, s94, v0
	v_addc_co_u32_e32 v1, vcc, v1, v5, vcc
	v_cmp_le_i64_e32 vcc, s[34:35], v[0:1]
	s_or_b64 s[44:45], vcc, s[44:45]
	global_store_short v[2:3], v4, off
	s_andn2_b64 exec, exec, s[44:45]
	s_cbranch_execz .LBB22_60
.LBB22_3:                               ; =>This Loop Header: Depth=1
                                        ;     Child Loop BB22_6 Depth 2
	buffer_load_dword v4, off, s[96:99], 0  ; 4-byte Folded Reload
	v_sub_u32_e32 v3, 0, v0
	v_max_i32_e32 v3, v0, v3
	v_ashrrev_i32_e32 v2, 31, v0
	v_xor_b32_e32 v2, s95, v2
	v_mov_b32_e32 v71, 0
	s_waitcnt vmcnt(0)
	v_mul_hi_u32 v4, v3, v4
	v_mul_lo_u32 v5, v4, s93
	v_sub_u32_e32 v3, v3, v5
	v_add_u32_e32 v5, 1, v4
	v_cmp_le_u32_e32 vcc, s93, v3
	v_cndmask_b32_e32 v4, v4, v5, vcc
	v_subrev_u32_e32 v5, s93, v3
	v_cndmask_b32_e32 v3, v3, v5, vcc
	v_add_u32_e32 v5, 1, v4
	v_cmp_le_u32_e32 vcc, s93, v3
	v_cndmask_b32_e32 v3, v4, v5, vcc
	buffer_load_dword v5, off, s[96:99], 0 offset:4 ; 4-byte Folded Reload
	v_xor_b32_e32 v3, v3, v2
	v_sub_u32_e32 v2, v3, v2
	v_sub_u32_e32 v4, 0, v2
	v_max_i32_e32 v4, v2, v4
	v_mul_lo_u32 v3, v2, s14
	v_sub_u32_e32 v64, v0, v3
	v_ashrrev_i32_e32 v3, 31, v2
	v_xor_b32_e32 v3, s36, v3
	s_waitcnt vmcnt(0)
	v_mul_hi_u32 v5, v4, v5
	v_mul_lo_u32 v6, v5, s27
	v_sub_u32_e32 v4, v4, v6
	v_add_u32_e32 v6, 1, v5
	v_cmp_le_u32_e32 vcc, s27, v4
	v_cndmask_b32_e32 v5, v5, v6, vcc
	v_subrev_u32_e32 v6, s27, v4
	v_cndmask_b32_e32 v4, v4, v6, vcc
	v_add_u32_e32 v6, 1, v5
	v_cmp_le_u32_e32 vcc, s27, v4
	v_cndmask_b32_e32 v4, v5, v6, vcc
	v_xor_b32_e32 v4, v4, v3
	v_sub_u32_e32 v3, v4, v3
	v_mul_lo_u32 v4, v3, s19
	v_sub_u32_e32 v65, v2, v4
	v_sub_u32_e32 v4, 0, v3
	v_max_i32_e32 v4, v3, v4
	v_mul_hi_u32 v5, v4, v62
	v_mul_lo_u32 v6, v5, s92
	v_sub_u32_e32 v4, v4, v6
	v_add_u32_e32 v6, 1, v5
	v_cmp_le_u32_e32 vcc, s92, v4
	v_cndmask_b32_e32 v5, v5, v6, vcc
	v_subrev_u32_e32 v6, s92, v4
	v_cndmask_b32_e32 v4, v4, v6, vcc
	v_ashrrev_i32_e32 v2, 31, v3
	v_add_u32_e32 v6, 1, v5
	v_cmp_le_u32_e32 vcc, s92, v4
	v_xor_b32_e32 v2, s37, v2
	v_cndmask_b32_e32 v4, v5, v6, vcc
	v_xor_b32_e32 v4, v4, v2
	v_sub_u32_e32 v2, v4, v2
	v_mul_lo_u32 v4, v2, s18
	v_sub_u32_e32 v66, v3, v4
	v_sub_u32_e32 v4, 0, v2
	v_max_i32_e32 v4, v2, v4
	v_mul_hi_u32 v5, v4, v63
	v_mul_lo_u32 v6, v5, s33
	v_sub_u32_e32 v4, v4, v6
	v_add_u32_e32 v6, 1, v5
	v_cmp_le_u32_e32 vcc, s33, v4
	v_cndmask_b32_e32 v5, v5, v6, vcc
	v_subrev_u32_e32 v6, s33, v4
	v_cndmask_b32_e32 v4, v4, v6, vcc
	v_ashrrev_i32_e32 v3, 31, v2
	v_add_u32_e32 v6, 1, v5
	v_cmp_le_u32_e32 vcc, s33, v4
	v_xor_b32_e32 v3, s16, v3
	v_cndmask_b32_e32 v4, v5, v6, vcc
	v_xor_b32_e32 v4, v4, v3
	v_sub_u32_e32 v68, v4, v3
	v_mul_lo_u32 v3, v68, s17
	v_sub_u32_e32 v67, v2, v3
	v_mul_lo_u32 v2, v67, s20
	v_add_u32_e32 v3, s20, v2
	v_cmp_lt_i32_e32 vcc, v2, v3
	s_and_saveexec_b64 s[46:47], vcc
	s_cbranch_execz .LBB22_2
; %bb.4:                                ;   in Loop: Header=BB22_3 Depth=1
	v_readlane_b32 s0, v127, 2
	v_add_u32_e32 v13, s0, v66
	v_readlane_b32 s0, v127, 6
	v_readlane_b32 s1, v127, 3
	v_mul_lo_u32 v2, s0, v2
	v_add_u32_e32 v5, s1, v65
	v_ashrrev_i32_e32 v3, 31, v2
	v_readlane_b32 s0, v127, 7
	v_lshlrev_b64 v[2:3], 1, v[2:3]
	v_readlane_b32 s1, v127, 8
	v_mul_lo_u32 v6, s38, v68
	v_mov_b32_e32 v4, s1
	v_add_co_u32_e32 v2, vcc, s0, v2
	v_ashrrev_i32_e32 v7, 31, v6
	v_readlane_b32 s0, v127, 0
	v_addc_co_u32_e32 v3, vcc, v4, v3, vcc
	v_lshlrev_b64 v[6:7], 1, v[6:7]
	v_readlane_b32 s1, v127, 1
	v_readlane_b32 s2, v127, 4
	v_mov_b32_e32 v4, s1
	v_add_co_u32_e32 v69, vcc, s0, v6
	v_mul_lo_u32 v15, v13, s22
	v_add_u32_e32 v40, s2, v64
	v_addc_co_u32_e32 v70, vcc, v4, v7, vcc
	v_add_u32_e32 v4, v5, v15
	v_mul_lo_u32 v8, v4, s23
	v_or_b32_e32 v4, v40, v5
	v_add_u32_e32 v11, -2, v13
	v_add_u32_e32 v19, -1, v13
	v_or_b32_e32 v17, v4, v11
	v_or_b32_e32 v21, v4, v19
	;; [unrolled: 1-line block ×3, first 2 shown]
	v_add_u32_e32 v41, -1, v40
	v_readlane_b32 s3, v127, 5
	v_cmp_lt_i32_e32 vcc, -1, v4
	v_cmp_gt_i32_e64 s[0:1], s23, v40
	v_or_b32_e32 v6, v41, v5
	v_cmp_gt_i32_e64 s[8:9], s22, v5
	s_and_b64 s[2:3], s[0:1], vcc
	v_or_b32_e32 v23, v6, v11
	v_or_b32_e32 v24, v6, v19
	;; [unrolled: 1-line block ×3, first 2 shown]
	v_cmp_gt_i32_e64 s[10:11], s21, v13
	s_and_b64 s[2:3], s[2:3], s[8:9]
	v_cmp_lt_i32_e32 vcc, -1, v6
	v_cmp_gt_i32_e64 s[4:5], s23, v41
	v_add_u32_e32 v42, -2, v40
	s_and_b64 s[48:49], s[2:3], s[10:11]
	s_and_b64 s[2:3], s[4:5], vcc
	v_or_b32_e32 v22, v42, v5
	s_and_b64 s[2:3], s[2:3], s[8:9]
	v_or_b32_e32 v25, v22, v11
	v_or_b32_e32 v26, v22, v19
	;; [unrolled: 1-line block ×3, first 2 shown]
	v_add_u32_e32 v9, -1, v5
	s_and_b64 s[50:51], s[2:3], s[10:11]
	v_cmp_lt_i32_e64 s[2:3], -1, v22
	v_cmp_gt_i32_e32 vcc, s23, v42
	v_or_b32_e32 v10, v40, v9
	s_and_b64 s[2:3], vcc, s[2:3]
	s_and_b64 s[2:3], s[2:3], s[8:9]
	v_or_b32_e32 v27, v10, v11
	v_or_b32_e32 v28, v10, v19
	;; [unrolled: 1-line block ×3, first 2 shown]
	s_and_b64 s[52:53], s[2:3], s[10:11]
	v_cmp_lt_i32_e64 s[2:3], -1, v10
	v_or_b32_e32 v12, v41, v9
	v_cmp_gt_i32_e64 s[6:7], s22, v9
	s_and_b64 s[2:3], s[0:1], s[2:3]
	s_and_b64 s[2:3], s[2:3], s[6:7]
	v_or_b32_e32 v29, v12, v11
	v_or_b32_e32 v30, v12, v19
	;; [unrolled: 1-line block ×3, first 2 shown]
	s_and_b64 s[54:55], s[2:3], s[10:11]
	v_cmp_lt_i32_e64 s[2:3], -1, v12
	v_or_b32_e32 v14, v42, v9
	s_and_b64 s[2:3], s[4:5], s[2:3]
	v_add_u32_e32 v7, -2, v5
	s_and_b64 s[2:3], s[2:3], s[6:7]
	v_or_b32_e32 v31, v14, v11
	v_or_b32_e32 v32, v14, v19
	;; [unrolled: 1-line block ×4, first 2 shown]
	s_and_b64 s[56:57], s[2:3], s[10:11]
	v_cmp_lt_i32_e64 s[2:3], -1, v14
	s_and_b64 s[2:3], vcc, s[2:3]
	v_or_b32_e32 v33, v16, v11
	v_or_b32_e32 v34, v16, v19
	;; [unrolled: 1-line block ×3, first 2 shown]
	s_and_b64 s[2:3], s[2:3], s[6:7]
	v_cmp_lt_i32_e64 s[12:13], -1, v16
	v_or_b32_e32 v18, v41, v7
	s_and_b64 s[58:59], s[2:3], s[10:11]
	v_cmp_gt_i32_e64 s[2:3], s22, v7
	s_and_b64 s[12:13], s[0:1], s[12:13]
	s_and_b64 s[12:13], s[12:13], s[2:3]
	v_or_b32_e32 v35, v18, v11
	v_or_b32_e32 v36, v18, v19
	;; [unrolled: 1-line block ×3, first 2 shown]
	s_and_b64 s[60:61], s[12:13], s[10:11]
	v_cmp_lt_i32_e64 s[12:13], -1, v18
	v_or_b32_e32 v20, v42, v7
	s_and_b64 s[12:13], s[4:5], s[12:13]
	s_and_b64 s[12:13], s[12:13], s[2:3]
	v_or_b32_e32 v13, v20, v13
	s_and_b64 s[62:63], s[12:13], s[10:11]
	v_cmp_lt_i32_e64 s[12:13], -1, v13
	s_and_b64 s[12:13], vcc, s[12:13]
	s_and_b64 s[12:13], s[12:13], s[2:3]
	s_and_b64 s[64:65], s[12:13], s[10:11]
	v_cmp_lt_i32_e64 s[12:13], -1, v21
	s_and_b64 s[82:83], s[0:1], s[8:9]
	v_cmp_gt_i32_e64 s[10:11], s21, v19
	s_and_b64 s[12:13], s[82:83], s[12:13]
	s_and_b64 s[66:67], s[12:13], s[10:11]
	v_cmp_lt_i32_e64 s[12:13], -1, v24
	s_and_b64 s[84:85], s[4:5], s[8:9]
	s_and_b64 s[12:13], s[84:85], s[12:13]
	;; [unrolled: 1-line block ×3, first 2 shown]
	v_cmp_lt_i32_e64 s[12:13], -1, v26
	s_and_b64 s[86:87], vcc, s[8:9]
	s_and_b64 s[8:9], s[86:87], s[12:13]
	s_and_b64 s[70:71], s[8:9], s[10:11]
	v_cmp_lt_i32_e64 s[8:9], -1, v28
	s_and_b64 s[8:9], s[0:1], s[8:9]
	s_and_b64 s[8:9], s[8:9], s[6:7]
	;; [unrolled: 1-line block ×3, first 2 shown]
	v_cmp_lt_i32_e64 s[8:9], -1, v30
	s_and_b64 s[8:9], s[4:5], s[8:9]
	s_and_b64 s[8:9], s[8:9], s[6:7]
	;; [unrolled: 1-line block ×3, first 2 shown]
	v_cmp_lt_i32_e64 s[8:9], -1, v32
	s_and_b64 s[8:9], vcc, s[8:9]
	s_and_b64 s[8:9], s[8:9], s[6:7]
	s_and_b64 s[76:77], s[8:9], s[10:11]
	v_cmp_lt_i32_e64 s[8:9], -1, v34
	s_and_b64 s[8:9], s[0:1], s[8:9]
	s_and_b64 s[8:9], s[8:9], s[2:3]
	;; [unrolled: 1-line block ×3, first 2 shown]
	v_cmp_lt_i32_e64 s[8:9], -1, v36
	s_and_b64 s[8:9], s[4:5], s[8:9]
	v_or_b32_e32 v38, v20, v19
	s_and_b64 s[8:9], s[8:9], s[2:3]
	s_and_b64 s[80:81], s[8:9], s[10:11]
	v_cmp_lt_i32_e64 s[8:9], -1, v38
	s_and_b64 s[8:9], vcc, s[8:9]
	s_and_b64 s[8:9], s[8:9], s[2:3]
	v_cmp_lt_i32_e64 s[12:13], -1, v17
	s_and_b64 s[10:11], s[8:9], s[10:11]
	v_cmp_lt_i32_e64 s[8:9], -1, v23
	s_and_b64 s[12:13], s[82:83], s[12:13]
	s_and_b64 s[82:83], s[84:85], s[8:9]
	v_cmp_lt_i32_e64 s[8:9], -1, v25
	s_and_b64 s[84:85], s[86:87], s[8:9]
	v_cmp_lt_i32_e64 s[8:9], -1, v27
	s_and_b64 s[8:9], s[0:1], s[8:9]
	s_and_b64 s[86:87], s[8:9], s[6:7]
	v_cmp_lt_i32_e64 s[8:9], -1, v29
	s_and_b64 s[8:9], s[4:5], s[8:9]
	s_and_b64 s[88:89], s[8:9], s[6:7]
	v_cmp_lt_i32_e64 s[8:9], -1, v31
	v_add_u32_e32 v22, v9, v15
	s_and_b64 s[8:9], vcc, s[8:9]
	v_mul_lo_u32 v22, v22, s23
	v_subrev_u32_e32 v13, s22, v15
	s_and_b64 s[90:91], s[8:9], s[6:7]
	v_cmp_lt_i32_e64 s[6:7], -1, v33
	v_add_u32_e32 v10, v40, v22
	v_add_u32_e32 v12, v41, v22
	v_add_u32_e32 v14, v42, v22
	v_add_u32_e32 v22, v7, v15
	v_add_u32_e32 v15, v5, v13
	s_and_b64 s[42:43], s[0:1], s[6:7]
	v_cmp_lt_i32_e64 s[0:1], -1, v35
	v_mul_lo_u32 v22, v22, s23
	v_or_b32_e32 v37, v20, v11
	v_mul_lo_u32 v15, v15, s23
	s_and_b64 s[24:25], s[4:5], s[0:1]
	v_cmp_gt_i32_e64 s[0:1], s21, v11
	v_subrev_u32_e32 v11, s22, v13
	v_add_u32_e32 v16, v40, v22
	v_add_u32_e32 v18, v41, v22
	;; [unrolled: 1-line block ×8, first 2 shown]
	v_mul_lo_u32 v15, v15, s23
	v_mul_lo_u32 v5, v5, s23
	v_add_u32_e32 v28, v40, v15
	v_add_u32_e32 v30, v41, v15
	;; [unrolled: 1-line block ×9, first 2 shown]
	v_cmp_lt_i32_e64 s[4:5], -1, v37
	v_mul_lo_u32 v15, v15, s23
	v_mul_lo_u32 v5, v5, s23
	;; [unrolled: 1-line block ×3, first 2 shown]
	s_and_b64 s[4:5], vcc, s[4:5]
	v_add_u32_e32 v4, v40, v8
	v_add_u32_e32 v6, v41, v8
	;; [unrolled: 1-line block ×9, first 2 shown]
	s_and_b64 s[42:43], s[42:43], s[2:3]
	v_add_u32_e32 v56, v40, v43
	s_and_b64 s[24:25], s[24:25], s[2:3]
	v_add_u32_e32 v58, v41, v43
	;; [unrolled: 2-line block ×3, first 2 shown]
	v_ashrrev_i32_e32 v5, 31, v4
	v_ashrrev_i32_e32 v7, 31, v6
	;; [unrolled: 1-line block ×18, first 2 shown]
	s_and_b64 s[6:7], s[12:13], s[0:1]
	v_ashrrev_i32_e32 v45, 31, v44
	s_and_b64 s[8:9], s[82:83], s[0:1]
	v_ashrrev_i32_e32 v47, 31, v46
	;; [unrolled: 2-line block ×9, first 2 shown]
	s_mul_i32 s2, s39, s20
	v_lshlrev_b64 v[4:5], 1, v[4:5]
	v_lshlrev_b64 v[6:7], 1, v[6:7]
	;; [unrolled: 1-line block ×27, first 2 shown]
	s_mov_b32 s4, s20
	v_mov_b32_e32 v71, 0
	v_mul_lo_u32 v58, s2, v67
	s_branch .LBB22_6
.LBB22_5:                               ;   in Loop: Header=BB22_6 Depth=2
	s_or_b64 exec, exec, s[2:3]
	s_waitcnt vmcnt(26)
	v_fma_mix_f32 v59, v59, v72, v71 op_sel_hi:[0,1,0]
	s_waitcnt vmcnt(25)
	v_fma_mix_f32 v59, v77, v75, v59 op_sel_hi:[0,1,0]
	;; [unrolled: 2-line block ×26, first 2 shown]
	v_add_co_u32_e32 v2, vcc, 54, v2
	s_add_i32 s4, s4, -1
	s_waitcnt vmcnt(0)
	v_fma_mix_f32 v71, v124, v126, v59 op_sel_hi:[0,1,0]
	v_addc_co_u32_e32 v3, vcc, 0, v3, vcc
	s_cmp_eq_u32 s4, 0
	v_add_u32_e32 v58, s39, v58
	s_cbranch_scc1 .LBB22_2
.LBB22_6:                               ;   Parent Loop BB22_3 Depth=1
                                        ; =>  This Inner Loop Header: Depth=2
	global_load_ushort v72, v[2:3], off
	v_ashrrev_i32_e32 v59, 31, v58
	v_lshlrev_b64 v[74:75], 1, v[58:59]
	v_add_co_u32_e32 v73, vcc, v69, v74
	v_addc_co_u32_e32 v74, vcc, v70, v75, vcc
	v_mov_b32_e32 v59, 0
	s_and_saveexec_b64 s[2:3], s[48:49]
	s_cbranch_execz .LBB22_8
; %bb.7:                                ;   in Loop: Header=BB22_6 Depth=2
	v_add_co_u32_e32 v76, vcc, v73, v4
	v_addc_co_u32_e32 v77, vcc, v74, v5, vcc
	global_load_ushort v59, v[76:77], off
	s_waitcnt vmcnt(0)
	v_cvt_f32_f16_e32 v59, v59
.LBB22_8:                               ;   in Loop: Header=BB22_6 Depth=2
	s_or_b64 exec, exec, s[2:3]
	global_load_ushort v75, v[2:3], off offset:2
	v_mov_b32_e32 v76, 0
	v_mov_b32_e32 v77, 0
	s_and_saveexec_b64 s[2:3], s[50:51]
	s_cbranch_execz .LBB22_10
; %bb.9:                                ;   in Loop: Header=BB22_6 Depth=2
	v_add_co_u32_e32 v78, vcc, v73, v6
	v_addc_co_u32_e32 v79, vcc, v74, v7, vcc
	global_load_ushort v60, v[78:79], off
	s_waitcnt vmcnt(0)
	v_cvt_f32_f16_e32 v77, v60
.LBB22_10:                              ;   in Loop: Header=BB22_6 Depth=2
	s_or_b64 exec, exec, s[2:3]
	global_load_ushort v78, v[2:3], off offset:4
	s_and_saveexec_b64 s[2:3], s[52:53]
	s_cbranch_execz .LBB22_12
; %bb.11:                               ;   in Loop: Header=BB22_6 Depth=2
	v_add_co_u32_e32 v80, vcc, v73, v8
	v_addc_co_u32_e32 v81, vcc, v74, v9, vcc
	global_load_ushort v60, v[80:81], off
	s_waitcnt vmcnt(0)
	v_cvt_f32_f16_e32 v76, v60
.LBB22_12:                              ;   in Loop: Header=BB22_6 Depth=2
	s_or_b64 exec, exec, s[2:3]
	global_load_ushort v79, v[2:3], off offset:6
	v_mov_b32_e32 v80, 0
	v_mov_b32_e32 v81, 0
	s_and_saveexec_b64 s[2:3], s[54:55]
	s_cbranch_execz .LBB22_14
; %bb.13:                               ;   in Loop: Header=BB22_6 Depth=2
	v_add_co_u32_e32 v82, vcc, v73, v10
	v_addc_co_u32_e32 v83, vcc, v74, v11, vcc
	global_load_ushort v60, v[82:83], off
	s_waitcnt vmcnt(0)
	v_cvt_f32_f16_e32 v81, v60
.LBB22_14:                              ;   in Loop: Header=BB22_6 Depth=2
	s_or_b64 exec, exec, s[2:3]
	global_load_ushort v82, v[2:3], off offset:8
	s_and_saveexec_b64 s[2:3], s[56:57]
	s_cbranch_execz .LBB22_16
; %bb.15:                               ;   in Loop: Header=BB22_6 Depth=2
	v_add_co_u32_e32 v84, vcc, v73, v12
	v_addc_co_u32_e32 v85, vcc, v74, v13, vcc
	global_load_ushort v60, v[84:85], off
	s_waitcnt vmcnt(0)
	v_cvt_f32_f16_e32 v80, v60
.LBB22_16:                              ;   in Loop: Header=BB22_6 Depth=2
	s_or_b64 exec, exec, s[2:3]
	global_load_ushort v83, v[2:3], off offset:10
	v_mov_b32_e32 v84, 0
	v_mov_b32_e32 v85, 0
	s_and_saveexec_b64 s[2:3], s[58:59]
	s_cbranch_execz .LBB22_18
; %bb.17:                               ;   in Loop: Header=BB22_6 Depth=2
	v_add_co_u32_e32 v86, vcc, v73, v14
	v_addc_co_u32_e32 v87, vcc, v74, v15, vcc
	global_load_ushort v60, v[86:87], off
	s_waitcnt vmcnt(0)
	v_cvt_f32_f16_e32 v85, v60
.LBB22_18:                              ;   in Loop: Header=BB22_6 Depth=2
	;; [unrolled: 24-line block ×12, first 2 shown]
	s_or_b64 exec, exec, s[2:3]
	global_load_ushort v126, v[2:3], off offset:52
	s_and_saveexec_b64 s[2:3], s[0:1]
	s_cbranch_execz .LBB22_5
; %bb.59:                               ;   in Loop: Header=BB22_6 Depth=2
	v_add_co_u32_e32 v60, vcc, v73, v56
	v_addc_co_u32_e32 v61, vcc, v74, v57, vcc
	global_load_ushort v60, v[60:61], off
	s_waitcnt vmcnt(0)
	v_cvt_f32_f16_e32 v124, v60
	s_branch .LBB22_5
.LBB22_60:
	s_endpgm
	.section	.rodata,"a",@progbits
	.p2align	6, 0x0
	.amdhsa_kernel _ZN2at6native12_GLOBAL__N_143conv_depthwise3d_cuda_backward_input_kernelIN3c104HalfEfLi3ELi3ELi3ELi1ELi1ELi1ELi1ELi1ELi1EEEvN5torch10headeronly6detail27GenericPackedTensorAccessorINS7_14TensorAccessorINS3_8ArrayRefIlEEKT_Lm4ENS6_16DefaultPtrTraitsEiEENS_6detail16IndexBoundsCheckILm5EiEESD_Lm5ESE_iEENS8_INS9_ISB_SC_Lm4ESE_iEESI_SC_Lm5ESE_iEESJ_iiiiiiiii
		.amdhsa_group_segment_fixed_size 0
		.amdhsa_private_segment_fixed_size 12
		.amdhsa_kernarg_size 440
		.amdhsa_user_sgpr_count 6
		.amdhsa_user_sgpr_private_segment_buffer 1
		.amdhsa_user_sgpr_dispatch_ptr 0
		.amdhsa_user_sgpr_queue_ptr 0
		.amdhsa_user_sgpr_kernarg_segment_ptr 1
		.amdhsa_user_sgpr_dispatch_id 0
		.amdhsa_user_sgpr_flat_scratch_init 0
		.amdhsa_user_sgpr_kernarg_preload_length 0
		.amdhsa_user_sgpr_kernarg_preload_offset 0
		.amdhsa_user_sgpr_private_segment_size 0
		.amdhsa_uses_dynamic_stack 0
		.amdhsa_system_sgpr_private_segment_wavefront_offset 1
		.amdhsa_system_sgpr_workgroup_id_x 1
		.amdhsa_system_sgpr_workgroup_id_y 0
		.amdhsa_system_sgpr_workgroup_id_z 0
		.amdhsa_system_sgpr_workgroup_info 0
		.amdhsa_system_vgpr_workitem_id 0
		.amdhsa_next_free_vgpr 128
		.amdhsa_next_free_sgpr 100
		.amdhsa_accum_offset 128
		.amdhsa_reserve_vcc 1
		.amdhsa_reserve_flat_scratch 0
		.amdhsa_float_round_mode_32 0
		.amdhsa_float_round_mode_16_64 0
		.amdhsa_float_denorm_mode_32 3
		.amdhsa_float_denorm_mode_16_64 3
		.amdhsa_dx10_clamp 1
		.amdhsa_ieee_mode 1
		.amdhsa_fp16_overflow 0
		.amdhsa_tg_split 0
		.amdhsa_exception_fp_ieee_invalid_op 0
		.amdhsa_exception_fp_denorm_src 0
		.amdhsa_exception_fp_ieee_div_zero 0
		.amdhsa_exception_fp_ieee_overflow 0
		.amdhsa_exception_fp_ieee_underflow 0
		.amdhsa_exception_fp_ieee_inexact 0
		.amdhsa_exception_int_div_zero 0
	.end_amdhsa_kernel
	.section	.text._ZN2at6native12_GLOBAL__N_143conv_depthwise3d_cuda_backward_input_kernelIN3c104HalfEfLi3ELi3ELi3ELi1ELi1ELi1ELi1ELi1ELi1EEEvN5torch10headeronly6detail27GenericPackedTensorAccessorINS7_14TensorAccessorINS3_8ArrayRefIlEEKT_Lm4ENS6_16DefaultPtrTraitsEiEENS_6detail16IndexBoundsCheckILm5EiEESD_Lm5ESE_iEENS8_INS9_ISB_SC_Lm4ESE_iEESI_SC_Lm5ESE_iEESJ_iiiiiiiii,"axG",@progbits,_ZN2at6native12_GLOBAL__N_143conv_depthwise3d_cuda_backward_input_kernelIN3c104HalfEfLi3ELi3ELi3ELi1ELi1ELi1ELi1ELi1ELi1EEEvN5torch10headeronly6detail27GenericPackedTensorAccessorINS7_14TensorAccessorINS3_8ArrayRefIlEEKT_Lm4ENS6_16DefaultPtrTraitsEiEENS_6detail16IndexBoundsCheckILm5EiEESD_Lm5ESE_iEENS8_INS9_ISB_SC_Lm4ESE_iEESI_SC_Lm5ESE_iEESJ_iiiiiiiii,comdat
.Lfunc_end22:
	.size	_ZN2at6native12_GLOBAL__N_143conv_depthwise3d_cuda_backward_input_kernelIN3c104HalfEfLi3ELi3ELi3ELi1ELi1ELi1ELi1ELi1ELi1EEEvN5torch10headeronly6detail27GenericPackedTensorAccessorINS7_14TensorAccessorINS3_8ArrayRefIlEEKT_Lm4ENS6_16DefaultPtrTraitsEiEENS_6detail16IndexBoundsCheckILm5EiEESD_Lm5ESE_iEENS8_INS9_ISB_SC_Lm4ESE_iEESI_SC_Lm5ESE_iEESJ_iiiiiiiii, .Lfunc_end22-_ZN2at6native12_GLOBAL__N_143conv_depthwise3d_cuda_backward_input_kernelIN3c104HalfEfLi3ELi3ELi3ELi1ELi1ELi1ELi1ELi1ELi1EEEvN5torch10headeronly6detail27GenericPackedTensorAccessorINS7_14TensorAccessorINS3_8ArrayRefIlEEKT_Lm4ENS6_16DefaultPtrTraitsEiEENS_6detail16IndexBoundsCheckILm5EiEESD_Lm5ESE_iEENS8_INS9_ISB_SC_Lm4ESE_iEESI_SC_Lm5ESE_iEESJ_iiiiiiiii
                                        ; -- End function
	.section	.AMDGPU.csdata,"",@progbits
; Kernel info:
; codeLenInByte = 4332
; NumSgprs: 104
; NumVgprs: 128
; NumAgprs: 0
; TotalNumVgprs: 128
; ScratchSize: 12
; MemoryBound: 0
; FloatMode: 240
; IeeeMode: 1
; LDSByteSize: 0 bytes/workgroup (compile time only)
; SGPRBlocks: 12
; VGPRBlocks: 15
; NumSGPRsForWavesPerEU: 104
; NumVGPRsForWavesPerEU: 128
; AccumOffset: 128
; Occupancy: 4
; WaveLimiterHint : 0
; COMPUTE_PGM_RSRC2:SCRATCH_EN: 1
; COMPUTE_PGM_RSRC2:USER_SGPR: 6
; COMPUTE_PGM_RSRC2:TRAP_HANDLER: 0
; COMPUTE_PGM_RSRC2:TGID_X_EN: 1
; COMPUTE_PGM_RSRC2:TGID_Y_EN: 0
; COMPUTE_PGM_RSRC2:TGID_Z_EN: 0
; COMPUTE_PGM_RSRC2:TIDIG_COMP_CNT: 0
; COMPUTE_PGM_RSRC3_GFX90A:ACCUM_OFFSET: 31
; COMPUTE_PGM_RSRC3_GFX90A:TG_SPLIT: 0
	.section	.text._ZN2at6native12_GLOBAL__N_143conv_depthwise3d_cuda_backward_input_kernelIN3c104HalfEfLi3ELi3ELi3ELi1ELi1ELi1ELin1ELin1ELin1EEEvN5torch10headeronly6detail27GenericPackedTensorAccessorINS7_14TensorAccessorINS3_8ArrayRefIlEEKT_Lm4ENS6_16DefaultPtrTraitsEiEENS_6detail16IndexBoundsCheckILm5EiEESD_Lm5ESE_iEENS8_INS9_ISB_SC_Lm4ESE_iEESI_SC_Lm5ESE_iEESJ_iiiiiiiii,"axG",@progbits,_ZN2at6native12_GLOBAL__N_143conv_depthwise3d_cuda_backward_input_kernelIN3c104HalfEfLi3ELi3ELi3ELi1ELi1ELi1ELin1ELin1ELin1EEEvN5torch10headeronly6detail27GenericPackedTensorAccessorINS7_14TensorAccessorINS3_8ArrayRefIlEEKT_Lm4ENS6_16DefaultPtrTraitsEiEENS_6detail16IndexBoundsCheckILm5EiEESD_Lm5ESE_iEENS8_INS9_ISB_SC_Lm4ESE_iEESI_SC_Lm5ESE_iEESJ_iiiiiiiii,comdat
	.globl	_ZN2at6native12_GLOBAL__N_143conv_depthwise3d_cuda_backward_input_kernelIN3c104HalfEfLi3ELi3ELi3ELi1ELi1ELi1ELin1ELin1ELin1EEEvN5torch10headeronly6detail27GenericPackedTensorAccessorINS7_14TensorAccessorINS3_8ArrayRefIlEEKT_Lm4ENS6_16DefaultPtrTraitsEiEENS_6detail16IndexBoundsCheckILm5EiEESD_Lm5ESE_iEENS8_INS9_ISB_SC_Lm4ESE_iEESI_SC_Lm5ESE_iEESJ_iiiiiiiii ; -- Begin function _ZN2at6native12_GLOBAL__N_143conv_depthwise3d_cuda_backward_input_kernelIN3c104HalfEfLi3ELi3ELi3ELi1ELi1ELi1ELin1ELin1ELin1EEEvN5torch10headeronly6detail27GenericPackedTensorAccessorINS7_14TensorAccessorINS3_8ArrayRefIlEEKT_Lm4ENS6_16DefaultPtrTraitsEiEENS_6detail16IndexBoundsCheckILm5EiEESD_Lm5ESE_iEENS8_INS9_ISB_SC_Lm4ESE_iEESI_SC_Lm5ESE_iEESJ_iiiiiiiii
	.p2align	8
	.type	_ZN2at6native12_GLOBAL__N_143conv_depthwise3d_cuda_backward_input_kernelIN3c104HalfEfLi3ELi3ELi3ELi1ELi1ELi1ELin1ELin1ELin1EEEvN5torch10headeronly6detail27GenericPackedTensorAccessorINS7_14TensorAccessorINS3_8ArrayRefIlEEKT_Lm4ENS6_16DefaultPtrTraitsEiEENS_6detail16IndexBoundsCheckILm5EiEESD_Lm5ESE_iEENS8_INS9_ISB_SC_Lm4ESE_iEESI_SC_Lm5ESE_iEESJ_iiiiiiiii,@function
_ZN2at6native12_GLOBAL__N_143conv_depthwise3d_cuda_backward_input_kernelIN3c104HalfEfLi3ELi3ELi3ELi1ELi1ELi1ELin1ELin1ELin1EEEvN5torch10headeronly6detail27GenericPackedTensorAccessorINS7_14TensorAccessorINS3_8ArrayRefIlEEKT_Lm4ENS6_16DefaultPtrTraitsEiEENS_6detail16IndexBoundsCheckILm5EiEESD_Lm5ESE_iEENS8_INS9_ISB_SC_Lm4ESE_iEESI_SC_Lm5ESE_iEESJ_iiiiiiiii: ; @_ZN2at6native12_GLOBAL__N_143conv_depthwise3d_cuda_backward_input_kernelIN3c104HalfEfLi3ELi3ELi3ELi1ELi1ELi1ELin1ELin1ELin1EEEvN5torch10headeronly6detail27GenericPackedTensorAccessorINS7_14TensorAccessorINS3_8ArrayRefIlEEKT_Lm4ENS6_16DefaultPtrTraitsEiEENS_6detail16IndexBoundsCheckILm5EiEESD_Lm5ESE_iEENS8_INS9_ISB_SC_Lm4ESE_iEESI_SC_Lm5ESE_iEESJ_iiiiiiiii
; %bb.0:
	s_load_dwordx4 s[8:11], s[4:5], 0x38
	s_load_dwordx2 s[16:17], s[4:5], 0x48
	s_mov_b64 s[98:99], s[2:3]
	s_mov_b64 s[96:97], s[0:1]
	s_add_u32 s96, s96, s7
	s_addc_u32 s97, s97, 0
	s_waitcnt lgkmcnt(0)
	s_abs_i32 s0, s9
	v_cvt_f32_u32_e32 v2, s0
                                        ; implicit-def: $vgpr126 : SGPR spill to VGPR lane
	s_load_dword s2, s[4:5], 0xc4
	v_writelane_b32 v126, s0, 0
	v_writelane_b32 v126, s8, 1
	v_rcp_iflag_f32_e32 v2, v2
	v_writelane_b32 v126, s9, 2
	v_writelane_b32 v126, s10, 3
	;; [unrolled: 1-line block ×3, first 2 shown]
	v_mul_f32_e32 v2, 0x4f7ffffe, v2
	v_cvt_u32_f32_e32 v2, v2
	s_mul_i32 s8, s17, s8
	s_add_u32 s0, s4, 0xb8
	v_mov_b32_e32 v1, 0
	v_mov_b32_e32 v3, s6
	s_addc_u32 s1, s5, 0
	s_waitcnt lgkmcnt(0)
	s_and_b32 s2, s2, 0xffff
	s_ashr_i32 s9, s8, 31
	v_mad_u64_u32 v[0:1], s[6:7], s2, v3, v[0:1]
	v_writelane_b32 v126, s8, 5
	v_readfirstlane_b32 s3, v2
	v_writelane_b32 v126, s9, 6
	v_cmp_gt_i64_e32 vcc, s[8:9], v[0:1]
	s_and_saveexec_b64 s[6:7], vcc
	s_cbranch_execz .LBB23_60
; %bb.1:
	s_load_dwordx2 s[6:7], s[4:5], 0x0
	s_load_dwordx4 s[24:27], s[4:5], 0x50
	s_load_dwordx4 s[8:11], s[4:5], 0xc
	;; [unrolled: 1-line block ×3, first 2 shown]
	s_mov_b32 s75, 0
	s_load_dword s0, s[0:1], 0x0
	s_waitcnt lgkmcnt(0)
	v_writelane_b32 v126, s6, 7
	v_writelane_b32 v126, s7, 8
	s_ashr_i32 s6, s8, 31
	v_writelane_b32 v126, s8, 9
	v_writelane_b32 v126, s9, 10
	;; [unrolled: 1-line block ×4, first 2 shown]
	v_readlane_b32 s11, v126, 0
	s_abs_i32 s7, s8
	s_sub_i32 s8, 0, s11
	s_mul_i32 s9, s8, s3
	s_mul_hi_u32 s9, s3, s9
	s_add_i32 s3, s3, s9
	s_mul_hi_u32 s3, s7, s3
	s_mul_i32 s9, s3, s11
	s_ashr_i32 s74, s13, 31
	s_sub_i32 s7, s7, s9
	s_xor_b32 s6, s6, s74
	s_add_i32 s9, s3, 1
	s_sub_i32 s10, s7, s11
	s_cmp_ge_u32 s7, s11
	s_cselect_b32 s3, s9, s3
	s_cselect_b32 s7, s10, s7
	s_add_i32 s9, s3, 1
	s_cmp_ge_u32 s7, s11
	s_load_dwordx2 s[12:13], s[4:5], 0xa0
	s_cselect_b32 s3, s9, s3
	s_xor_b32 s3, s3, s6
	s_sub_i32 s3, s3, s6
	s_load_dwordx4 s[20:23], s[4:5], 0x90
	s_load_dword s6, s[4:5], 0x7c
	s_waitcnt lgkmcnt(0)
	v_writelane_b32 v126, s12, 13
	v_writelane_b32 v126, s13, 14
	s_abs_i32 s1, s16
	v_cvt_f32_u32_e32 v3, s1
	v_writelane_b32 v126, s6, 15
	s_load_dwordx2 s[6:7], s[4:5], 0x1c
	s_load_dwordx2 s[10:11], s[4:5], 0x30
	s_mul_i32 s0, s0, s2
	v_rcp_iflag_f32_e32 v3, v3
	s_abs_i32 s2, s15
	v_cvt_f32_u32_e32 v4, s2
	s_waitcnt lgkmcnt(0)
	v_writelane_b32 v126, s10, 16
	v_writelane_b32 v126, s11, 17
	s_load_dwordx2 s[10:11], s[4:5], 0x60
	v_mul_f32_e32 v3, 0x4f7ffffe, v3
	v_cvt_u32_f32_e32 v3, v3
	v_rcp_iflag_f32_e32 v4, v4
                                        ; kill: killed $sgpr4 killed $sgpr5
	s_mov_b64 s[4:5], 0
	s_waitcnt lgkmcnt(0)
	v_writelane_b32 v126, s10, 18
	v_writelane_b32 v126, s11, 19
	v_writelane_b32 v126, s24, 20
	v_writelane_b32 v126, s25, 21
	v_writelane_b32 v126, s26, 22
	v_writelane_b32 v126, s27, 23
	v_writelane_b32 v126, s0, 24
	s_ashr_i32 s0, s16, 31
	v_writelane_b32 v126, s0, 25
	s_sub_i32 s0, 0, s1
	v_mul_lo_u32 v5, s0, v3
	v_mul_hi_u32 v5, v3, v5
	v_writelane_b32 v126, s1, 26
	v_add_u32_e32 v3, v3, v5
	s_abs_i32 s1, s14
	buffer_store_dword v3, off, s[96:99], 0 ; 4-byte Folded Spill
	v_cvt_f32_u32_e32 v3, s1
	v_mul_f32_e32 v4, 0x4f7ffffe, v4
	v_cvt_u32_f32_e32 v4, v4
	s_ashr_i32 s0, s15, 31
	v_rcp_iflag_f32_e32 v3, v3
	v_writelane_b32 v126, s0, 27
	s_sub_i32 s0, 0, s2
	v_mul_lo_u32 v5, s0, v4
	v_mul_f32_e32 v3, 0x4f7ffffe, v3
	v_cvt_u32_f32_e32 v3, v3
	v_writelane_b32 v126, s2, 28
	v_mul_hi_u32 v5, v4, v5
	s_ashr_i32 s0, s14, 31
	v_add_u32_e32 v4, v4, v5
	v_writelane_b32 v126, s0, 29
	s_sub_i32 s0, 0, s1
	buffer_store_dword v4, off, s[96:99], 0 offset:4 ; 4-byte Folded Spill
	v_mul_lo_u32 v4, s0, v3
	s_abs_i32 s0, s20
	v_cvt_f32_u32_e32 v5, s0
	v_mul_hi_u32 v4, v3, v4
	v_add_u32_e32 v3, v3, v4
	buffer_store_dword v3, off, s[96:99], 0 offset:8 ; 4-byte Folded Spill
	v_rcp_iflag_f32_e32 v4, v5
	v_mul_lo_u32 v3, s8, v2
	v_mul_hi_u32 v3, v2, v3
	v_add_u32_e32 v2, v2, v3
	v_writelane_b32 v126, s1, 30
	buffer_store_dword v2, off, s[96:99], 0 offset:12 ; 4-byte Folded Spill
	s_ashr_i32 s1, s20, 31
	v_mul_f32_e32 v2, 0x4f7ffffe, v4
	v_writelane_b32 v126, s1, 31
	v_cvt_u32_f32_e32 v2, v2
	s_abs_i32 s1, s21
	v_cvt_f32_u32_e32 v3, s1
	v_writelane_b32 v126, s0, 32
	s_sub_i32 s0, 0, s0
	v_mul_lo_u32 v4, s0, v2
	v_mul_hi_u32 v4, v2, v4
	v_rcp_iflag_f32_e32 v3, v3
	s_abs_i32 s2, s22
	v_add_u32_e32 v64, v2, v4
	v_cvt_f32_u32_e32 v2, s2
	s_ashr_i32 s0, s21, 31
	v_mul_f32_e32 v3, 0x4f7ffffe, v3
	v_writelane_b32 v126, s0, 33
	v_cvt_u32_f32_e32 v3, v3
	v_rcp_iflag_f32_e32 v2, v2
	v_writelane_b32 v126, s1, 34
	v_writelane_b32 v126, s20, 35
	;; [unrolled: 1-line block ×3, first 2 shown]
	s_sub_i32 s0, 0, s1
	v_writelane_b32 v126, s22, 37
	v_mul_lo_u32 v4, s0, v3
	v_mul_f32_e32 v2, 0x4f7ffffe, v2
	v_writelane_b32 v126, s23, 38
	s_ashr_i32 s0, s22, 31
	v_cvt_u32_f32_e32 v2, v2
	v_writelane_b32 v126, s0, 39
	v_writelane_b32 v126, s2, 40
	;; [unrolled: 1-line block ×3, first 2 shown]
	v_mul_hi_u32 v4, v3, v4
	s_sub_i32 s0, 0, s2
	v_writelane_b32 v126, s6, 42
	v_add_u32_e32 v65, v3, v4
	v_mul_lo_u32 v3, s0, v2
	v_writelane_b32 v126, s7, 43
	s_mul_i32 s0, s7, s3
	v_writelane_b32 v126, s0, 44
	v_mul_hi_u32 v3, v2, v3
	v_writelane_b32 v126, s16, 45
	v_add_u32_e32 v66, v2, v3
	v_writelane_b32 v126, s17, 46
	s_branch .LBB23_3
.LBB23_2:                               ;   in Loop: Header=BB23_3 Depth=1
	v_readlane_b32 s0, v126, 49
	v_readlane_b32 s1, v126, 50
	s_or_b64 exec, exec, s[0:1]
	v_readlane_b32 s16, v126, 45
	v_readlane_b32 s17, v126, 46
	v_mul_lo_u32 v2, v71, s17
	v_ashrrev_i32_e32 v3, 31, v2
	v_readlane_b32 s0, v126, 16
	v_lshlrev_b64 v[2:3], 1, v[2:3]
	v_readlane_b32 s1, v126, 17
	v_mov_b32_e32 v5, s1
	v_add_co_u32_e32 v6, vcc, s0, v2
	v_readlane_b32 s0, v126, 20
	v_mul_lo_u32 v2, s0, v70
	v_addc_co_u32_e32 v5, vcc, v5, v3, vcc
	v_ashrrev_i32_e32 v3, 31, v2
	v_readlane_b32 s1, v126, 21
	v_lshlrev_b64 v[2:3], 1, v[2:3]
	v_add_co_u32_e32 v6, vcc, v6, v2
	v_mul_lo_u32 v2, s1, v69
	v_addc_co_u32_e32 v5, vcc, v5, v3, vcc
	v_ashrrev_i32_e32 v3, 31, v2
	v_readlane_b32 s2, v126, 22
	v_lshlrev_b64 v[2:3], 1, v[2:3]
	v_add_co_u32_e32 v6, vcc, v6, v2
	;; [unrolled: 6-line block ×3, first 2 shown]
	v_mul_lo_u32 v2, s3, v67
	v_addc_co_u32_e32 v5, vcc, v5, v3, vcc
	v_ashrrev_i32_e32 v3, 31, v2
	v_lshlrev_b64 v[2:3], 1, v[2:3]
	v_add_co_u32_e32 v2, vcc, v6, v2
	v_addc_co_u32_e32 v3, vcc, v5, v3, vcc
	v_readlane_b32 s0, v126, 24
	v_cvt_f16_f32_e32 v4, v74
	v_mov_b32_e32 v5, s75
	v_add_co_u32_e32 v0, vcc, s0, v0
	v_readlane_b32 s0, v126, 5
	v_readlane_b32 s4, v126, 47
	v_addc_co_u32_e32 v1, vcc, v1, v5, vcc
	v_readlane_b32 s1, v126, 6
	v_readlane_b32 s5, v126, 48
	v_cmp_le_i64_e32 vcc, s[0:1], v[0:1]
	s_or_b64 s[4:5], vcc, s[4:5]
	global_store_short v[2:3], v4, off
	s_andn2_b64 exec, exec, s[4:5]
	s_cbranch_execz .LBB23_60
.LBB23_3:                               ; =>This Loop Header: Depth=1
                                        ;     Child Loop BB23_6 Depth 2
	buffer_load_dword v4, off, s[96:99], 0  ; 4-byte Folded Reload
	v_writelane_b32 v126, s4, 47
	v_writelane_b32 v126, s5, 48
	v_sub_u32_e32 v3, 0, v0
	v_ashrrev_i32_e32 v2, 31, v0
	v_readlane_b32 s0, v126, 25
	v_max_i32_e32 v3, v0, v3
	v_xor_b32_e32 v2, s0, v2
	v_readlane_b32 s0, v126, 26
	v_mov_b32_e32 v74, 0
	s_waitcnt vmcnt(0)
	v_mul_hi_u32 v4, v3, v4
	v_mul_lo_u32 v5, v4, s0
	v_sub_u32_e32 v3, v3, v5
	v_add_u32_e32 v5, 1, v4
	v_cmp_le_u32_e32 vcc, s0, v3
	v_cndmask_b32_e32 v4, v4, v5, vcc
	v_subrev_u32_e32 v5, s0, v3
	v_cndmask_b32_e32 v3, v3, v5, vcc
	v_add_u32_e32 v5, 1, v4
	v_cmp_le_u32_e32 vcc, s0, v3
	v_cndmask_b32_e32 v3, v4, v5, vcc
	buffer_load_dword v5, off, s[96:99], 0 offset:4 ; 4-byte Folded Reload
	v_xor_b32_e32 v3, v3, v2
	v_sub_u32_e32 v2, v3, v2
	v_mul_lo_u32 v3, v2, s16
	v_sub_u32_e32 v4, 0, v2
	v_sub_u32_e32 v67, v0, v3
	v_ashrrev_i32_e32 v3, 31, v2
	v_readlane_b32 s0, v126, 27
	v_max_i32_e32 v4, v2, v4
	v_xor_b32_e32 v3, s0, v3
	v_readlane_b32 s0, v126, 28
	s_waitcnt vmcnt(0)
	v_mul_hi_u32 v5, v4, v5
	v_mul_lo_u32 v6, v5, s0
	v_sub_u32_e32 v4, v4, v6
	v_add_u32_e32 v6, 1, v5
	v_cmp_le_u32_e32 vcc, s0, v4
	v_cndmask_b32_e32 v5, v5, v6, vcc
	v_subrev_u32_e32 v6, s0, v4
	v_cndmask_b32_e32 v4, v4, v6, vcc
	v_add_u32_e32 v6, 1, v5
	v_cmp_le_u32_e32 vcc, s0, v4
	v_cndmask_b32_e32 v4, v5, v6, vcc
	buffer_load_dword v5, off, s[96:99], 0 offset:8 ; 4-byte Folded Reload
	v_xor_b32_e32 v4, v4, v3
	v_readlane_b32 s0, v126, 1
	v_sub_u32_e32 v3, v4, v3
	v_readlane_b32 s3, v126, 4
	v_mul_lo_u32 v4, v3, s3
	v_sub_u32_e32 v68, v2, v4
	v_sub_u32_e32 v4, 0, v3
	v_ashrrev_i32_e32 v2, 31, v3
	v_readlane_b32 s0, v126, 29
	v_max_i32_e32 v4, v3, v4
	v_xor_b32_e32 v2, s0, v2
	v_readlane_b32 s0, v126, 30
	v_readlane_b32 s2, v126, 3
	v_readlane_b32 s1, v126, 2
	s_waitcnt vmcnt(0)
	v_mul_hi_u32 v5, v4, v5
	v_mul_lo_u32 v6, v5, s0
	v_sub_u32_e32 v4, v4, v6
	v_add_u32_e32 v6, 1, v5
	v_cmp_le_u32_e32 vcc, s0, v4
	v_cndmask_b32_e32 v5, v5, v6, vcc
	v_subrev_u32_e32 v6, s0, v4
	v_cndmask_b32_e32 v4, v4, v6, vcc
	v_add_u32_e32 v6, 1, v5
	v_cmp_le_u32_e32 vcc, s0, v4
	v_cndmask_b32_e32 v4, v5, v6, vcc
	buffer_load_dword v5, off, s[96:99], 0 offset:12 ; 4-byte Folded Reload
	v_xor_b32_e32 v4, v4, v2
	v_sub_u32_e32 v2, v4, v2
	v_mul_lo_u32 v4, v2, s2
	v_sub_u32_e32 v69, v3, v4
	v_sub_u32_e32 v4, 0, v2
	v_max_i32_e32 v4, v2, v4
	v_readlane_b32 s0, v126, 0
	v_ashrrev_i32_e32 v3, 31, v2
	v_xor_b32_e32 v3, s74, v3
	s_waitcnt vmcnt(0)
	v_mul_hi_u32 v5, v4, v5
	v_mul_lo_u32 v6, v5, s0
	v_sub_u32_e32 v4, v4, v6
	v_add_u32_e32 v6, 1, v5
	v_cmp_le_u32_e32 vcc, s0, v4
	v_cndmask_b32_e32 v5, v5, v6, vcc
	v_subrev_u32_e32 v6, s0, v4
	v_cndmask_b32_e32 v4, v4, v6, vcc
	v_add_u32_e32 v6, 1, v5
	v_cmp_le_u32_e32 vcc, s0, v4
	v_cndmask_b32_e32 v4, v5, v6, vcc
	v_xor_b32_e32 v4, v4, v3
	v_sub_u32_e32 v71, v4, v3
	v_mul_lo_u32 v3, v71, s1
	v_sub_u32_e32 v70, v2, v3
	v_readlane_b32 s0, v126, 41
	v_mul_lo_u32 v2, v70, s0
	v_add_u32_e32 v3, s0, v2
	v_cmp_lt_i32_e32 vcc, v2, v3
	s_mov_b64 s[0:1], exec
	v_writelane_b32 v126, s0, 49
	v_writelane_b32 v126, s1, 50
	s_and_b64 s[0:1], s[0:1], vcc
	s_mov_b64 exec, s[0:1]
	s_cbranch_execz .LBB23_2
; %bb.4:                                ;   in Loop: Header=BB23_3 Depth=1
	v_readlane_b32 s0, v126, 13
	v_add_u32_e32 v11, s0, v68
	v_readlane_b32 s0, v126, 15
	v_readlane_b32 s1, v126, 14
	v_mul_lo_u32 v2, s0, v2
	v_add_u32_e32 v5, s1, v67
	v_ashrrev_i32_e32 v3, 31, v2
	v_readlane_b32 s0, v126, 18
	v_lshlrev_b64 v[2:3], 1, v[2:3]
	v_readlane_b32 s1, v126, 19
	v_mov_b32_e32 v4, s1
	v_add_co_u32_e32 v2, vcc, s0, v2
	v_readlane_b32 s0, v126, 42
	v_readlane_b32 s40, v126, 35
	v_mul_lo_u32 v6, s0, v71
	v_readlane_b32 s43, v126, 38
	v_readlane_b32 s1, v126, 43
	v_ashrrev_i32_e32 v7, 31, v6
	v_add_u32_e32 v10, s43, v69
	v_addc_co_u32_e32 v3, vcc, v4, v3, vcc
	v_lshlrev_b64 v[6:7], 1, v[6:7]
	v_readlane_b32 s0, v126, 7
	v_readlane_b32 s1, v126, 8
	v_add_co_u32_e32 v72, vcc, s0, v6
	v_sub_u32_e32 v6, 0, v10
	v_mov_b32_e32 v4, s1
	v_max_i32_e32 v6, v10, v6
	v_addc_co_u32_e32 v73, vcc, v4, v7, vcc
	v_mul_hi_u32 v7, v6, v64
	v_readlane_b32 s0, v126, 32
	v_mul_lo_u32 v8, v7, s0
	v_sub_u32_e32 v6, v6, v8
	v_add_u32_e32 v8, 1, v7
	v_cmp_le_u32_e32 vcc, s0, v6
	v_cndmask_b32_e32 v7, v7, v8, vcc
	v_subrev_u32_e32 v8, s0, v6
	v_cndmask_b32_e32 v6, v6, v8, vcc
	v_ashrrev_i32_e32 v4, 31, v10
	v_readlane_b32 s20, v126, 31
	v_add_u32_e32 v8, 1, v7
	v_cmp_le_u32_e32 vcc, s0, v6
	v_xor_b32_e32 v4, s20, v4
	v_cndmask_b32_e32 v6, v7, v8, vcc
	v_xor_b32_e32 v6, v6, v4
	v_sub_u32_e32 v7, v6, v4
	v_sub_u32_e32 v6, 0, v11
	v_max_i32_e32 v6, v11, v6
	v_mul_hi_u32 v8, v6, v65
	v_readlane_b32 s1, v126, 34
	v_mul_lo_u32 v9, v8, s1
	v_sub_u32_e32 v6, v6, v9
	v_add_u32_e32 v9, 1, v8
	v_cmp_le_u32_e32 vcc, s1, v6
	v_cndmask_b32_e32 v8, v8, v9, vcc
	v_subrev_u32_e32 v9, s1, v6
	v_cndmask_b32_e32 v6, v6, v9, vcc
	v_add_u32_e32 v9, 1, v8
	v_cmp_le_u32_e32 vcc, s1, v6
	v_cndmask_b32_e32 v6, v8, v9, vcc
	v_sub_u32_e32 v8, 0, v5
	v_max_i32_e32 v8, v5, v8
	v_mul_hi_u32 v9, v8, v66
	v_readlane_b32 s8, v126, 40
	v_mul_lo_u32 v12, v9, s8
	v_sub_u32_e32 v8, v8, v12
	v_add_u32_e32 v12, 1, v9
	v_cmp_le_u32_e32 vcc, s8, v8
	v_cndmask_b32_e32 v9, v9, v12, vcc
	v_subrev_u32_e32 v12, s8, v8
	v_cndmask_b32_e32 v8, v8, v12, vcc
	v_add_u32_e32 v12, 1, v9
	v_cmp_le_u32_e32 vcc, s8, v8
	v_cndmask_b32_e32 v8, v9, v12, vcc
	v_add_u32_e32 v15, -2, v11
	v_sub_u32_e32 v9, 2, v11
	v_max_i32_e32 v9, v15, v9
	v_mul_hi_u32 v12, v9, v65
	v_mul_lo_u32 v13, v12, s1
	v_sub_u32_e32 v9, v9, v13
	v_add_u32_e32 v13, 1, v12
	v_cmp_le_u32_e32 vcc, s1, v9
	v_cndmask_b32_e32 v12, v12, v13, vcc
	v_subrev_u32_e32 v13, s1, v9
	v_cndmask_b32_e32 v9, v9, v13, vcc
	v_ashrrev_i32_e32 v4, 31, v11
	v_readlane_b32 s4, v126, 33
	v_add_u32_e32 v13, 1, v12
	v_cmp_le_u32_e32 vcc, s1, v9
	v_xor_b32_e32 v4, s4, v4
	v_cndmask_b32_e32 v9, v12, v13, vcc
	v_add_u32_e32 v17, -1, v11
	v_sub_u32_e32 v12, 1, v11
	v_xor_b32_e32 v6, v6, v4
	v_max_i32_e32 v12, v17, v12
	v_sub_u32_e32 v4, v6, v4
	v_ashrrev_i32_e32 v6, 31, v5
	v_readlane_b32 s9, v126, 39
	v_mul_hi_u32 v13, v12, v65
	v_xor_b32_e32 v6, s9, v6
	v_mul_lo_u32 v14, v13, s1
	v_xor_b32_e32 v8, v8, v6
	v_sub_u32_e32 v12, v12, v14
	v_sub_u32_e32 v6, v8, v6
	v_ashrrev_i32_e32 v8, 31, v15
	v_add_u32_e32 v14, 1, v13
	v_cmp_le_u32_e32 vcc, s1, v12
	v_xor_b32_e32 v8, s4, v8
	v_cndmask_b32_e32 v13, v13, v14, vcc
	v_subrev_u32_e32 v14, s1, v12
	v_xor_b32_e32 v9, v9, v8
	v_cndmask_b32_e32 v12, v12, v14, vcc
	v_sub_u32_e32 v8, v9, v8
	v_ashrrev_i32_e32 v9, 31, v17
	v_add_u32_e32 v14, 1, v13
	v_cmp_le_u32_e32 vcc, s1, v12
	v_xor_b32_e32 v9, s4, v9
	v_cndmask_b32_e32 v12, v13, v14, vcc
	v_xor_b32_e32 v12, v12, v9
	v_add_u32_e32 v18, -2, v10
	v_sub_u32_e32 v9, v12, v9
	v_sub_u32_e32 v12, 0, v18
	v_max_i32_e32 v12, v18, v12
	v_mul_hi_u32 v13, v12, v64
	v_mul_lo_u32 v14, v13, s0
	v_sub_u32_e32 v12, v12, v14
	v_add_u32_e32 v14, 1, v13
	v_cmp_le_u32_e32 vcc, s0, v12
	v_cndmask_b32_e32 v13, v13, v14, vcc
	v_subrev_u32_e32 v14, s0, v12
	v_cndmask_b32_e32 v12, v12, v14, vcc
	v_add_u32_e32 v14, 1, v13
	v_cmp_le_u32_e32 vcc, s0, v12
	v_add_u32_e32 v20, -1, v10
	v_cndmask_b32_e32 v26, v13, v14, vcc
	v_sub_u32_e32 v13, 0, v20
	v_max_i32_e32 v13, v20, v13
	v_mul_hi_u32 v14, v13, v64
	v_mul_lo_u32 v19, v14, s0
	v_sub_u32_e32 v13, v13, v19
	v_add_u32_e32 v19, 1, v14
	v_cmp_le_u32_e32 vcc, s0, v13
	v_cndmask_b32_e32 v14, v14, v19, vcc
	v_subrev_u32_e32 v19, s0, v13
	v_cndmask_b32_e32 v13, v13, v19, vcc
	v_ashrrev_i32_e32 v12, 31, v20
	v_add_u32_e32 v19, 1, v14
	v_cmp_le_u32_e32 vcc, s0, v13
	v_xor_b32_e32 v12, s20, v12
	v_cndmask_b32_e32 v13, v14, v19, vcc
	s_mov_b32 s33, s74
	v_readlane_b32 s72, v126, 9
	v_or_b32_e32 v24, v6, v4
	v_xor_b32_e32 v13, v13, v12
	v_readlane_b32 s75, v126, 12
	v_sub_u32_e32 v13, v13, v12
	v_or_b32_e32 v12, v24, v7
	v_readlane_b32 s74, v126, 11
	v_cmp_lt_i32_e64 s[0:1], -1, v12
	v_cmp_gt_i32_e32 vcc, s75, v6
	v_add_u32_e32 v19, -1, v5
	v_sub_u32_e32 v14, 1, v5
	v_readlane_b32 s73, v126, 10
	v_cmp_gt_i32_e64 s[2:3], s74, v4
	s_and_b64 s[0:1], vcc, s[0:1]
	v_max_i32_e32 v14, v19, v14
	v_cmp_gt_i32_e64 s[6:7], s73, v7
	s_and_b64 s[0:1], s[0:1], s[2:3]
	v_mul_hi_u32 v21, v14, v66
	s_and_b64 s[0:1], s[0:1], s[6:7]
	v_mul_lo_u32 v23, v21, s8
	v_readlane_b32 s41, v126, 36
	v_readlane_b32 s42, v126, 37
	v_writelane_b32 v126, s0, 51
	v_sub_u32_e32 v14, v14, v23
	v_writelane_b32 v126, s1, 52
	v_add_u32_e32 v23, 1, v21
	v_cmp_le_u32_e64 s[0:1], s8, v14
	v_cndmask_b32_e64 v21, v21, v23, s[0:1]
	v_subrev_u32_e32 v23, s8, v14
	v_cndmask_b32_e64 v14, v14, v23, s[0:1]
	v_ashrrev_i32_e32 v12, 31, v19
	v_add_u32_e32 v23, 1, v21
	v_cmp_le_u32_e64 s[0:1], s8, v14
	v_xor_b32_e32 v12, s9, v12
	v_cndmask_b32_e64 v14, v21, v23, s[0:1]
	v_xor_b32_e32 v14, v14, v12
	v_sub_u32_e32 v12, v14, v12
	v_or_b32_e32 v28, v12, v4
	v_or_b32_e32 v14, v28, v7
	v_cmp_lt_i32_e64 s[4:5], -1, v14
	v_cmp_gt_i32_e64 s[0:1], s75, v12
	v_add_u32_e32 v21, -2, v5
	v_sub_u32_e32 v25, 2, v5
	s_and_b64 s[4:5], s[0:1], s[4:5]
	v_max_i32_e32 v25, v21, v25
	s_and_b64 s[4:5], s[4:5], s[2:3]
	v_mul_hi_u32 v31, v25, v66
	s_and_b64 s[4:5], s[4:5], s[6:7]
	v_mul_lo_u32 v32, v31, s8
	v_writelane_b32 v126, s4, 53
	v_sub_u32_e32 v25, v25, v32
	v_writelane_b32 v126, s5, 54
	v_add_u32_e32 v32, 1, v31
	v_cmp_le_u32_e64 s[4:5], s8, v25
	v_cndmask_b32_e64 v31, v31, v32, s[4:5]
	v_subrev_u32_e32 v32, s8, v25
	v_cndmask_b32_e64 v25, v25, v32, s[4:5]
	v_ashrrev_i32_e32 v14, 31, v21
	v_add_u32_e32 v32, 1, v31
	v_cmp_le_u32_e64 s[4:5], s8, v25
	v_xor_b32_e32 v14, s9, v14
	v_cndmask_b32_e64 v25, v31, v32, s[4:5]
	v_xor_b32_e32 v25, v25, v14
	v_sub_u32_e32 v14, v25, v14
	v_or_b32_e32 v32, v14, v4
	v_or_b32_e32 v34, v32, v7
	v_cmp_lt_i32_e64 s[8:9], -1, v34
	v_cmp_gt_i32_e64 s[4:5], s75, v14
	s_and_b64 s[8:9], s[4:5], s[8:9]
	s_and_b64 s[8:9], s[8:9], s[2:3]
	v_or_b32_e32 v22, v6, v9
	s_and_b64 s[8:9], s[8:9], s[6:7]
	v_writelane_b32 v126, s8, 55
	v_or_b32_e32 v35, v22, v7
	v_writelane_b32 v126, s9, 56
	v_cmp_lt_i32_e64 s[8:9], -1, v35
	v_cmp_gt_i32_e64 s[10:11], s74, v9
	s_and_b64 s[8:9], vcc, s[8:9]
	s_and_b64 s[8:9], s[8:9], s[10:11]
	v_or_b32_e32 v27, v12, v9
	s_and_b64 s[8:9], s[8:9], s[6:7]
	v_writelane_b32 v126, s8, 57
	v_or_b32_e32 v36, v27, v7
	v_writelane_b32 v126, s9, 58
	v_cmp_lt_i32_e64 s[8:9], -1, v36
	s_and_b64 s[8:9], s[0:1], s[8:9]
	s_and_b64 s[8:9], s[8:9], s[10:11]
	v_or_b32_e32 v31, v14, v9
	s_and_b64 s[8:9], s[8:9], s[6:7]
	v_writelane_b32 v126, s8, 59
	v_or_b32_e32 v37, v31, v7
	v_writelane_b32 v126, s9, 60
	v_cmp_lt_i32_e64 s[8:9], -1, v37
	s_and_b64 s[8:9], s[4:5], s[8:9]
	v_or_b32_e32 v16, v6, v8
	s_and_b64 s[8:9], s[8:9], s[10:11]
	s_and_b64 s[8:9], s[8:9], s[6:7]
	v_or_b32_e32 v38, v16, v7
	v_writelane_b32 v126, s8, 61
	v_cmp_lt_i32_e64 s[12:13], -1, v38
	v_writelane_b32 v126, s9, 62
	v_cmp_gt_i32_e64 s[8:9], s74, v8
	s_and_b64 s[12:13], vcc, s[12:13]
	s_and_b64 s[12:13], s[12:13], s[8:9]
	v_or_b32_e32 v23, v12, v8
	s_and_b64 s[12:13], s[12:13], s[6:7]
                                        ; implicit-def: $vgpr127 : SGPR spill to VGPR lane
	v_writelane_b32 v126, s12, 63
	v_or_b32_e32 v39, v23, v7
	v_writelane_b32 v127, s13, 0
	v_cmp_lt_i32_e64 s[12:13], -1, v39
	s_and_b64 s[12:13], s[0:1], s[12:13]
	s_and_b64 s[12:13], s[12:13], s[8:9]
	v_or_b32_e32 v25, v14, v8
	s_and_b64 s[12:13], s[12:13], s[6:7]
	v_writelane_b32 v127, s12, 1
	v_or_b32_e32 v40, v25, v7
	v_writelane_b32 v127, s13, 2
	v_cmp_lt_i32_e64 s[12:13], -1, v40
	s_and_b64 s[12:13], s[4:5], s[12:13]
	s_and_b64 s[12:13], s[12:13], s[8:9]
	v_or_b32_e32 v29, v24, v13
	s_and_b64 s[6:7], s[12:13], s[6:7]
	v_writelane_b32 v127, s6, 3
	v_cmp_lt_i32_e64 s[12:13], -1, v29
	s_and_b64 s[14:15], vcc, s[2:3]
	v_or_b32_e32 v30, v28, v13
	v_writelane_b32 v127, s7, 4
	v_cmp_gt_i32_e64 s[6:7], s73, v13
	s_and_b64 s[12:13], s[14:15], s[12:13]
	s_and_b64 s[56:57], s[12:13], s[6:7]
	v_cmp_lt_i32_e64 s[12:13], -1, v30
	s_and_b64 s[16:17], s[0:1], s[2:3]
	v_or_b32_e32 v33, v32, v13
	s_and_b64 s[12:13], s[16:17], s[12:13]
	s_and_b64 s[58:59], s[12:13], s[6:7]
	v_cmp_lt_i32_e64 s[12:13], -1, v33
	s_and_b64 s[18:19], s[4:5], s[2:3]
	v_or_b32_e32 v34, v22, v13
	s_and_b64 s[2:3], s[18:19], s[12:13]
	s_and_b64 s[68:69], s[2:3], s[6:7]
	v_cmp_lt_i32_e64 s[2:3], -1, v34
	s_and_b64 s[2:3], vcc, s[2:3]
	v_or_b32_e32 v35, v27, v13
	s_and_b64 s[2:3], s[2:3], s[10:11]
	s_and_b64 s[70:71], s[2:3], s[6:7]
	v_cmp_lt_i32_e64 s[2:3], -1, v35
	s_and_b64 s[2:3], s[0:1], s[2:3]
	v_or_b32_e32 v36, v31, v13
	s_and_b64 s[2:3], s[2:3], s[10:11]
	s_and_b64 s[64:65], s[2:3], s[6:7]
	v_cmp_lt_i32_e64 s[2:3], -1, v36
	s_and_b64 s[2:3], s[4:5], s[2:3]
	v_or_b32_e32 v37, v16, v13
	s_and_b64 s[2:3], s[2:3], s[10:11]
	s_and_b64 s[66:67], s[2:3], s[6:7]
	v_cmp_lt_i32_e64 s[2:3], -1, v37
	s_and_b64 s[2:3], vcc, s[2:3]
	v_or_b32_e32 v38, v23, v13
	s_and_b64 s[2:3], s[2:3], s[8:9]
	s_and_b64 s[88:89], s[2:3], s[6:7]
	v_cmp_lt_i32_e64 s[2:3], -1, v38
	s_and_b64 s[2:3], s[0:1], s[2:3]
	v_ashrrev_i32_e32 v29, 31, v18
	v_or_b32_e32 v39, v25, v13
	s_and_b64 s[2:3], s[2:3], s[8:9]
	v_xor_b32_e32 v29, s20, v29
	s_and_b64 s[60:61], s[2:3], s[6:7]
	v_cmp_lt_i32_e64 s[2:3], -1, v39
	v_xor_b32_e32 v26, v26, v29
	s_and_b64 s[2:3], s[4:5], s[2:3]
	v_sub_u32_e32 v50, v26, v29
	s_and_b64 s[2:3], s[2:3], s[8:9]
	v_or_b32_e32 v24, v24, v50
	s_and_b64 s[62:63], s[2:3], s[6:7]
	v_cmp_lt_i32_e64 s[2:3], -1, v24
	v_or_b32_e32 v24, v28, v50
	s_and_b64 s[14:15], s[14:15], s[2:3]
	v_cmp_lt_i32_e64 s[2:3], -1, v24
	v_or_b32_e32 v24, v32, v50
	s_and_b64 s[16:17], s[16:17], s[2:3]
	v_cmp_lt_i32_e64 s[2:3], -1, v24
	v_or_b32_e32 v22, v22, v50
	s_and_b64 s[18:19], s[18:19], s[2:3]
	v_cmp_lt_i32_e64 s[2:3], -1, v22
	v_or_b32_e32 v24, v27, v50
	s_and_b64 s[2:3], vcc, s[2:3]
	s_and_b64 s[20:21], s[2:3], s[10:11]
	v_cmp_lt_i32_e64 s[2:3], -1, v24
	v_or_b32_e32 v26, v31, v50
	s_and_b64 s[2:3], s[0:1], s[2:3]
	s_and_b64 s[22:23], s[2:3], s[10:11]
	v_cmp_lt_i32_e64 s[2:3], -1, v26
	s_and_b64 s[2:3], s[4:5], s[2:3]
	v_mul_lo_u32 v22, v7, s40
	v_mul_lo_u32 v24, v4, s41
	;; [unrolled: 1-line block ×4, first 2 shown]
	s_and_b64 s[24:25], s[2:3], s[10:11]
	v_cmp_eq_u32_e64 s[2:3], v22, v10
	v_cmp_eq_u32_e64 s[6:7], v24, v11
	;; [unrolled: 1-line block ×4, first 2 shown]
	v_mul_lo_u32 v10, v13, s40
	s_and_b64 s[26:27], s[2:3], s[6:7]
	s_and_b64 s[28:29], s[2:3], s[10:11]
	;; [unrolled: 1-line block ×3, first 2 shown]
	v_cmp_eq_u32_e64 s[2:3], v10, v20
	v_mul_lo_u32 v10, v50, s40
	s_and_b64 s[34:35], s[2:3], s[6:7]
	s_and_b64 s[36:37], s[2:3], s[10:11]
	;; [unrolled: 1-line block ×3, first 2 shown]
	v_cmp_eq_u32_e64 s[2:3], v10, v18
	v_or_b32_e32 v10, v16, v50
	s_and_b64 s[40:41], s[2:3], s[6:7]
	s_and_b64 s[46:47], s[2:3], s[10:11]
	;; [unrolled: 1-line block ×3, first 2 shown]
	v_cmp_lt_i32_e64 s[2:3], -1, v10
	v_or_b32_e32 v10, v23, v50
	s_and_b64 s[2:3], vcc, s[2:3]
	v_cmp_lt_i32_e32 vcc, -1, v10
	v_or_b32_e32 v10, v25, v50
	s_and_b64 s[0:1], s[0:1], vcc
	v_cmp_lt_i32_e32 vcc, -1, v10
	v_mul_lo_u32 v10, v6, s42
	v_cmp_eq_u32_e64 s[48:49], v10, v5
	v_mul_lo_u32 v5, v7, s74
	v_add_u32_e32 v7, v4, v5
	v_mul_lo_u32 v7, v7, s75
	v_add_u32_e32 v10, v6, v7
	v_add_u32_e32 v16, v12, v7
	;; [unrolled: 1-line block ×5, first 2 shown]
	v_mul_lo_u32 v5, v5, s75
	v_mul_lo_u32 v7, v7, s75
	v_add_u32_e32 v26, v6, v5
	v_add_u32_e32 v28, v12, v5
	;; [unrolled: 1-line block ×3, first 2 shown]
	v_mul_lo_u32 v5, v13, s74
	v_add_u32_e32 v20, v6, v7
	v_add_u32_e32 v22, v12, v7
	v_add_u32_e32 v24, v14, v7
	v_add_u32_e32 v7, v4, v5
	v_mul_lo_u32 v7, v7, s75
	v_add_u32_e32 v32, v6, v7
	v_add_u32_e32 v34, v12, v7
	v_add_u32_e32 v36, v14, v7
	v_add_u32_e32 v7, v9, v5
	v_add_u32_e32 v5, v8, v5
	v_mul_lo_u32 v5, v5, s75
	v_add_u32_e32 v44, v6, v5
	v_add_u32_e32 v46, v12, v5
	;; [unrolled: 1-line block ×3, first 2 shown]
	v_mul_lo_u32 v5, v50, s74
	v_add_u32_e32 v4, v4, v5
	v_mul_lo_u32 v4, v4, s75
	s_and_b64 s[4:5], s[4:5], vcc
	v_cmp_gt_i32_e32 vcc, s73, v50
	v_add_u32_e32 v50, v6, v4
	v_add_u32_e32 v52, v12, v4
	;; [unrolled: 1-line block ×4, first 2 shown]
	v_mul_lo_u32 v4, v4, s75
	v_add_u32_e32 v56, v6, v4
	v_add_u32_e32 v58, v12, v4
	;; [unrolled: 1-line block ×4, first 2 shown]
	v_mul_lo_u32 v7, v7, s75
	v_mul_lo_u32 v4, v4, s75
	v_mul_lo_u32 v11, v12, s42
	v_mul_lo_u32 v15, v14, s42
	v_add_u32_e32 v38, v6, v7
	v_add_u32_e32 v40, v12, v7
	;; [unrolled: 1-line block ×6, first 2 shown]
	s_and_b64 s[2:3], s[2:3], s[8:9]
	s_and_b64 s[0:1], s[0:1], s[8:9]
	;; [unrolled: 1-line block ×3, first 2 shown]
	v_cmp_eq_u32_e64 s[50:51], v11, v19
	v_cmp_eq_u32_e64 s[52:53], v15, v21
	v_ashrrev_i32_e32 v11, 31, v10
	v_ashrrev_i32_e32 v17, 31, v16
	;; [unrolled: 1-line block ×18, first 2 shown]
	s_mov_b32 s74, s33
	v_ashrrev_i32_e32 v51, 31, v50
	v_ashrrev_i32_e32 v53, 31, v52
	;; [unrolled: 1-line block ×9, first 2 shown]
	v_readlane_b32 s33, v126, 44
	s_and_b64 s[86:87], s[14:15], vcc
	s_and_b64 s[80:81], s[16:17], vcc
	;; [unrolled: 1-line block ×9, first 2 shown]
	s_and_b64 vcc, s[26:27], s[48:49]
	s_and_b64 s[0:1], s[26:27], s[50:51]
	s_and_b64 s[2:3], s[26:27], s[52:53]
	;; [unrolled: 1-line block ×26, first 2 shown]
	s_mov_b32 s75, 0
	v_mul_lo_u32 v4, s33, v70
	v_mov_b32_e32 v74, 0
	v_lshlrev_b64 v[6:7], 1, v[10:11]
	v_lshlrev_b64 v[8:9], 1, v[16:17]
	;; [unrolled: 1-line block ×27, first 2 shown]
	v_readlane_b32 s33, v126, 41
	s_branch .LBB23_6
.LBB23_5:                               ;   in Loop: Header=BB23_6 Depth=2
	s_or_b64 exec, exec, s[72:73]
	s_waitcnt vmcnt(26)
	v_fma_mix_f32 v5, v5, v75, v74 op_sel_hi:[0,1,0]
	v_cndmask_b32_e32 v5, v74, v5, vcc
	s_waitcnt vmcnt(25)
	v_fma_mix_f32 v74, v80, v78, v5 op_sel_hi:[0,1,0]
	v_cndmask_b32_e64 v5, v5, v74, s[0:1]
	s_waitcnt vmcnt(24)
	v_fma_mix_f32 v74, v79, v81, v5 op_sel_hi:[0,1,0]
	v_cndmask_b32_e64 v5, v5, v74, s[2:3]
	;; [unrolled: 3-line block ×24, first 2 shown]
	v_add_co_u32_e64 v2, s[54:55], 54, v2
	s_waitcnt vmcnt(1)
	v_fma_mix_f32 v60, v62, v60, v5 op_sel_hi:[0,1,0]
	v_addc_co_u32_e64 v3, s[54:55], 0, v3, s[54:55]
	v_cndmask_b32_e64 v5, v5, v60, s[50:51]
	v_readlane_b32 s54, v126, 42
	s_waitcnt vmcnt(0)
	v_fma_mix_f32 v60, v61, v63, v5 op_sel_hi:[0,1,0]
	s_add_i32 s33, s33, -1
	v_readlane_b32 s55, v126, 43
	v_cndmask_b32_e64 v74, v5, v60, s[52:53]
	s_cmp_eq_u32 s33, 0
	v_add_u32_e32 v4, s55, v4
	s_cbranch_scc1 .LBB23_2
.LBB23_6:                               ;   Parent Loop BB23_3 Depth=1
                                        ; =>  This Inner Loop Header: Depth=2
	global_load_ushort v75, v[2:3], off
	v_ashrrev_i32_e32 v5, 31, v4
	v_lshlrev_b64 v[60:61], 1, v[4:5]
	v_add_co_u32_e64 v76, s[54:55], v72, v60
	v_addc_co_u32_e64 v77, s[54:55], v73, v61, s[54:55]
	v_mov_b32_e32 v5, 0
	s_mov_b64 s[72:73], exec
	v_readlane_b32 s54, v126, 51
	v_readlane_b32 s55, v126, 52
	s_and_b64 s[54:55], s[72:73], s[54:55]
	s_mov_b64 exec, s[54:55]
	s_cbranch_execz .LBB23_8
; %bb.7:                                ;   in Loop: Header=BB23_6 Depth=2
	v_add_co_u32_e64 v60, s[54:55], v76, v6
	v_addc_co_u32_e64 v61, s[54:55], v77, v7, s[54:55]
	global_load_ushort v5, v[60:61], off
	s_waitcnt vmcnt(0)
	v_cvt_f32_f16_e32 v5, v5
.LBB23_8:                               ;   in Loop: Header=BB23_6 Depth=2
	s_or_b64 exec, exec, s[72:73]
	global_load_ushort v78, v[2:3], off offset:2
	v_mov_b32_e32 v79, 0
	v_mov_b32_e32 v80, 0
	s_mov_b64 s[72:73], exec
	v_readlane_b32 s54, v126, 53
	v_readlane_b32 s55, v126, 54
	s_and_b64 s[54:55], s[72:73], s[54:55]
	s_mov_b64 exec, s[54:55]
	s_cbranch_execz .LBB23_10
; %bb.9:                                ;   in Loop: Header=BB23_6 Depth=2
	v_add_co_u32_e64 v60, s[54:55], v76, v8
	v_addc_co_u32_e64 v61, s[54:55], v77, v9, s[54:55]
	global_load_ushort v60, v[60:61], off
	s_waitcnt vmcnt(0)
	v_cvt_f32_f16_e32 v80, v60
.LBB23_10:                              ;   in Loop: Header=BB23_6 Depth=2
	s_or_b64 exec, exec, s[72:73]
	global_load_ushort v81, v[2:3], off offset:4
	s_mov_b64 s[72:73], exec
	v_readlane_b32 s54, v126, 55
	v_readlane_b32 s55, v126, 56
	s_and_b64 s[54:55], s[72:73], s[54:55]
	s_mov_b64 exec, s[54:55]
	s_cbranch_execz .LBB23_12
; %bb.11:                               ;   in Loop: Header=BB23_6 Depth=2
	v_add_co_u32_e64 v60, s[54:55], v76, v10
	v_addc_co_u32_e64 v61, s[54:55], v77, v11, s[54:55]
	global_load_ushort v60, v[60:61], off
	s_waitcnt vmcnt(0)
	v_cvt_f32_f16_e32 v79, v60
.LBB23_12:                              ;   in Loop: Header=BB23_6 Depth=2
	s_or_b64 exec, exec, s[72:73]
	global_load_ushort v82, v[2:3], off offset:6
	v_mov_b32_e32 v83, 0
	v_mov_b32_e32 v84, 0
	s_mov_b64 s[72:73], exec
	v_readlane_b32 s54, v126, 57
	v_readlane_b32 s55, v126, 58
	s_and_b64 s[54:55], s[72:73], s[54:55]
	s_mov_b64 exec, s[54:55]
	s_cbranch_execz .LBB23_14
; %bb.13:                               ;   in Loop: Header=BB23_6 Depth=2
	v_add_co_u32_e64 v60, s[54:55], v76, v12
	v_addc_co_u32_e64 v61, s[54:55], v77, v13, s[54:55]
	global_load_ushort v60, v[60:61], off
	s_waitcnt vmcnt(0)
	v_cvt_f32_f16_e32 v84, v60
.LBB23_14:                              ;   in Loop: Header=BB23_6 Depth=2
	s_or_b64 exec, exec, s[72:73]
	global_load_ushort v85, v[2:3], off offset:8
	s_mov_b64 s[72:73], exec
	v_readlane_b32 s54, v126, 59
	v_readlane_b32 s55, v126, 60
	s_and_b64 s[54:55], s[72:73], s[54:55]
	s_mov_b64 exec, s[54:55]
	s_cbranch_execz .LBB23_16
; %bb.15:                               ;   in Loop: Header=BB23_6 Depth=2
	v_add_co_u32_e64 v60, s[54:55], v76, v14
	v_addc_co_u32_e64 v61, s[54:55], v77, v15, s[54:55]
	global_load_ushort v60, v[60:61], off
	s_waitcnt vmcnt(0)
	v_cvt_f32_f16_e32 v83, v60
.LBB23_16:                              ;   in Loop: Header=BB23_6 Depth=2
	s_or_b64 exec, exec, s[72:73]
	global_load_ushort v86, v[2:3], off offset:10
	v_mov_b32_e32 v87, 0
	v_mov_b32_e32 v88, 0
	s_mov_b64 s[72:73], exec
	v_readlane_b32 s54, v126, 61
	v_readlane_b32 s55, v126, 62
	s_and_b64 s[54:55], s[72:73], s[54:55]
	s_mov_b64 exec, s[54:55]
	s_cbranch_execz .LBB23_18
; %bb.17:                               ;   in Loop: Header=BB23_6 Depth=2
	v_add_co_u32_e64 v60, s[54:55], v76, v16
	v_addc_co_u32_e64 v61, s[54:55], v77, v17, s[54:55]
	global_load_ushort v60, v[60:61], off
	s_waitcnt vmcnt(0)
	v_cvt_f32_f16_e32 v88, v60
.LBB23_18:                              ;   in Loop: Header=BB23_6 Depth=2
	;; [unrolled: 32-line block ×3, first 2 shown]
	s_or_b64 exec, exec, s[72:73]
	global_load_ushort v93, v[2:3], off offset:16
	s_mov_b64 s[72:73], exec
	v_readlane_b32 s54, v127, 3
	v_readlane_b32 s55, v127, 4
	s_and_b64 s[54:55], s[72:73], s[54:55]
	s_mov_b64 exec, s[54:55]
	s_cbranch_execz .LBB23_24
; %bb.23:                               ;   in Loop: Header=BB23_6 Depth=2
	v_add_co_u32_e64 v60, s[54:55], v76, v22
	v_addc_co_u32_e64 v61, s[54:55], v77, v23, s[54:55]
	global_load_ushort v60, v[60:61], off
	s_waitcnt vmcnt(0)
	v_cvt_f32_f16_e32 v91, v60
.LBB23_24:                              ;   in Loop: Header=BB23_6 Depth=2
	s_or_b64 exec, exec, s[72:73]
	global_load_ushort v94, v[2:3], off offset:18
	v_mov_b32_e32 v95, 0
	v_mov_b32_e32 v96, 0
	s_and_saveexec_b64 s[72:73], s[56:57]
	s_cbranch_execz .LBB23_26
; %bb.25:                               ;   in Loop: Header=BB23_6 Depth=2
	v_add_co_u32_e64 v60, s[54:55], v76, v24
	v_addc_co_u32_e64 v61, s[54:55], v77, v25, s[54:55]
	global_load_ushort v60, v[60:61], off
	s_waitcnt vmcnt(0)
	v_cvt_f32_f16_e32 v96, v60
.LBB23_26:                              ;   in Loop: Header=BB23_6 Depth=2
	s_or_b64 exec, exec, s[72:73]
	global_load_ushort v97, v[2:3], off offset:20
	s_and_saveexec_b64 s[72:73], s[58:59]
	s_cbranch_execz .LBB23_28
; %bb.27:                               ;   in Loop: Header=BB23_6 Depth=2
	v_add_co_u32_e64 v60, s[54:55], v76, v26
	v_addc_co_u32_e64 v61, s[54:55], v77, v27, s[54:55]
	global_load_ushort v60, v[60:61], off
	s_waitcnt vmcnt(0)
	v_cvt_f32_f16_e32 v95, v60
.LBB23_28:                              ;   in Loop: Header=BB23_6 Depth=2
	s_or_b64 exec, exec, s[72:73]
	global_load_ushort v98, v[2:3], off offset:22
	v_mov_b32_e32 v99, 0
	v_mov_b32_e32 v100, 0
	s_and_saveexec_b64 s[72:73], s[68:69]
	s_cbranch_execz .LBB23_30
; %bb.29:                               ;   in Loop: Header=BB23_6 Depth=2
	v_add_co_u32_e64 v60, s[54:55], v76, v28
	v_addc_co_u32_e64 v61, s[54:55], v77, v29, s[54:55]
	global_load_ushort v60, v[60:61], off
	s_waitcnt vmcnt(0)
	v_cvt_f32_f16_e32 v100, v60
.LBB23_30:                              ;   in Loop: Header=BB23_6 Depth=2
	s_or_b64 exec, exec, s[72:73]
	global_load_ushort v101, v[2:3], off offset:24
	s_and_saveexec_b64 s[72:73], s[70:71]
	;; [unrolled: 24-line block ×9, first 2 shown]
	s_cbranch_execz .LBB23_5
; %bb.59:                               ;   in Loop: Header=BB23_6 Depth=2
	v_add_co_u32_e64 v76, s[54:55], v76, v58
	v_addc_co_u32_e64 v77, s[54:55], v77, v59, s[54:55]
	global_load_ushort v61, v[76:77], off
	s_waitcnt vmcnt(0)
	v_cvt_f32_f16_e32 v61, v61
	s_branch .LBB23_5
.LBB23_60:
	s_endpgm
	.section	.rodata,"a",@progbits
	.p2align	6, 0x0
	.amdhsa_kernel _ZN2at6native12_GLOBAL__N_143conv_depthwise3d_cuda_backward_input_kernelIN3c104HalfEfLi3ELi3ELi3ELi1ELi1ELi1ELin1ELin1ELin1EEEvN5torch10headeronly6detail27GenericPackedTensorAccessorINS7_14TensorAccessorINS3_8ArrayRefIlEEKT_Lm4ENS6_16DefaultPtrTraitsEiEENS_6detail16IndexBoundsCheckILm5EiEESD_Lm5ESE_iEENS8_INS9_ISB_SC_Lm4ESE_iEESI_SC_Lm5ESE_iEESJ_iiiiiiiii
		.amdhsa_group_segment_fixed_size 0
		.amdhsa_private_segment_fixed_size 20
		.amdhsa_kernarg_size 440
		.amdhsa_user_sgpr_count 6
		.amdhsa_user_sgpr_private_segment_buffer 1
		.amdhsa_user_sgpr_dispatch_ptr 0
		.amdhsa_user_sgpr_queue_ptr 0
		.amdhsa_user_sgpr_kernarg_segment_ptr 1
		.amdhsa_user_sgpr_dispatch_id 0
		.amdhsa_user_sgpr_flat_scratch_init 0
		.amdhsa_user_sgpr_kernarg_preload_length 0
		.amdhsa_user_sgpr_kernarg_preload_offset 0
		.amdhsa_user_sgpr_private_segment_size 0
		.amdhsa_uses_dynamic_stack 0
		.amdhsa_system_sgpr_private_segment_wavefront_offset 1
		.amdhsa_system_sgpr_workgroup_id_x 1
		.amdhsa_system_sgpr_workgroup_id_y 0
		.amdhsa_system_sgpr_workgroup_id_z 0
		.amdhsa_system_sgpr_workgroup_info 0
		.amdhsa_system_vgpr_workitem_id 0
		.amdhsa_next_free_vgpr 128
		.amdhsa_next_free_sgpr 100
		.amdhsa_accum_offset 128
		.amdhsa_reserve_vcc 1
		.amdhsa_reserve_flat_scratch 0
		.amdhsa_float_round_mode_32 0
		.amdhsa_float_round_mode_16_64 0
		.amdhsa_float_denorm_mode_32 3
		.amdhsa_float_denorm_mode_16_64 3
		.amdhsa_dx10_clamp 1
		.amdhsa_ieee_mode 1
		.amdhsa_fp16_overflow 0
		.amdhsa_tg_split 0
		.amdhsa_exception_fp_ieee_invalid_op 0
		.amdhsa_exception_fp_denorm_src 0
		.amdhsa_exception_fp_ieee_div_zero 0
		.amdhsa_exception_fp_ieee_overflow 0
		.amdhsa_exception_fp_ieee_underflow 0
		.amdhsa_exception_fp_ieee_inexact 0
		.amdhsa_exception_int_div_zero 0
	.end_amdhsa_kernel
	.section	.text._ZN2at6native12_GLOBAL__N_143conv_depthwise3d_cuda_backward_input_kernelIN3c104HalfEfLi3ELi3ELi3ELi1ELi1ELi1ELin1ELin1ELin1EEEvN5torch10headeronly6detail27GenericPackedTensorAccessorINS7_14TensorAccessorINS3_8ArrayRefIlEEKT_Lm4ENS6_16DefaultPtrTraitsEiEENS_6detail16IndexBoundsCheckILm5EiEESD_Lm5ESE_iEENS8_INS9_ISB_SC_Lm4ESE_iEESI_SC_Lm5ESE_iEESJ_iiiiiiiii,"axG",@progbits,_ZN2at6native12_GLOBAL__N_143conv_depthwise3d_cuda_backward_input_kernelIN3c104HalfEfLi3ELi3ELi3ELi1ELi1ELi1ELin1ELin1ELin1EEEvN5torch10headeronly6detail27GenericPackedTensorAccessorINS7_14TensorAccessorINS3_8ArrayRefIlEEKT_Lm4ENS6_16DefaultPtrTraitsEiEENS_6detail16IndexBoundsCheckILm5EiEESD_Lm5ESE_iEENS8_INS9_ISB_SC_Lm4ESE_iEESI_SC_Lm5ESE_iEESJ_iiiiiiiii,comdat
.Lfunc_end23:
	.size	_ZN2at6native12_GLOBAL__N_143conv_depthwise3d_cuda_backward_input_kernelIN3c104HalfEfLi3ELi3ELi3ELi1ELi1ELi1ELin1ELin1ELin1EEEvN5torch10headeronly6detail27GenericPackedTensorAccessorINS7_14TensorAccessorINS3_8ArrayRefIlEEKT_Lm4ENS6_16DefaultPtrTraitsEiEENS_6detail16IndexBoundsCheckILm5EiEESD_Lm5ESE_iEENS8_INS9_ISB_SC_Lm4ESE_iEESI_SC_Lm5ESE_iEESJ_iiiiiiiii, .Lfunc_end23-_ZN2at6native12_GLOBAL__N_143conv_depthwise3d_cuda_backward_input_kernelIN3c104HalfEfLi3ELi3ELi3ELi1ELi1ELi1ELin1ELin1ELin1EEEvN5torch10headeronly6detail27GenericPackedTensorAccessorINS7_14TensorAccessorINS3_8ArrayRefIlEEKT_Lm4ENS6_16DefaultPtrTraitsEiEENS_6detail16IndexBoundsCheckILm5EiEESD_Lm5ESE_iEENS8_INS9_ISB_SC_Lm4ESE_iEESI_SC_Lm5ESE_iEESJ_iiiiiiiii
                                        ; -- End function
	.section	.AMDGPU.csdata,"",@progbits
; Kernel info:
; codeLenInByte = 7084
; NumSgprs: 104
; NumVgprs: 128
; NumAgprs: 0
; TotalNumVgprs: 128
; ScratchSize: 20
; MemoryBound: 0
; FloatMode: 240
; IeeeMode: 1
; LDSByteSize: 0 bytes/workgroup (compile time only)
; SGPRBlocks: 12
; VGPRBlocks: 15
; NumSGPRsForWavesPerEU: 104
; NumVGPRsForWavesPerEU: 128
; AccumOffset: 128
; Occupancy: 4
; WaveLimiterHint : 0
; COMPUTE_PGM_RSRC2:SCRATCH_EN: 1
; COMPUTE_PGM_RSRC2:USER_SGPR: 6
; COMPUTE_PGM_RSRC2:TRAP_HANDLER: 0
; COMPUTE_PGM_RSRC2:TGID_X_EN: 1
; COMPUTE_PGM_RSRC2:TGID_Y_EN: 0
; COMPUTE_PGM_RSRC2:TGID_Z_EN: 0
; COMPUTE_PGM_RSRC2:TIDIG_COMP_CNT: 0
; COMPUTE_PGM_RSRC3_GFX90A:ACCUM_OFFSET: 31
; COMPUTE_PGM_RSRC3_GFX90A:TG_SPLIT: 0
	.section	.text._ZN2at6native12_GLOBAL__N_143conv_depthwise3d_cuda_backward_input_kernelIN3c104HalfEfLi3ELi3ELi3ELin1ELin1ELin1ELi1ELi1ELi1EEEvN5torch10headeronly6detail27GenericPackedTensorAccessorINS7_14TensorAccessorINS3_8ArrayRefIlEEKT_Lm4ENS6_16DefaultPtrTraitsEiEENS_6detail16IndexBoundsCheckILm5EiEESD_Lm5ESE_iEENS8_INS9_ISB_SC_Lm4ESE_iEESI_SC_Lm5ESE_iEESJ_iiiiiiiii,"axG",@progbits,_ZN2at6native12_GLOBAL__N_143conv_depthwise3d_cuda_backward_input_kernelIN3c104HalfEfLi3ELi3ELi3ELin1ELin1ELin1ELi1ELi1ELi1EEEvN5torch10headeronly6detail27GenericPackedTensorAccessorINS7_14TensorAccessorINS3_8ArrayRefIlEEKT_Lm4ENS6_16DefaultPtrTraitsEiEENS_6detail16IndexBoundsCheckILm5EiEESD_Lm5ESE_iEENS8_INS9_ISB_SC_Lm4ESE_iEESI_SC_Lm5ESE_iEESJ_iiiiiiiii,comdat
	.globl	_ZN2at6native12_GLOBAL__N_143conv_depthwise3d_cuda_backward_input_kernelIN3c104HalfEfLi3ELi3ELi3ELin1ELin1ELin1ELi1ELi1ELi1EEEvN5torch10headeronly6detail27GenericPackedTensorAccessorINS7_14TensorAccessorINS3_8ArrayRefIlEEKT_Lm4ENS6_16DefaultPtrTraitsEiEENS_6detail16IndexBoundsCheckILm5EiEESD_Lm5ESE_iEENS8_INS9_ISB_SC_Lm4ESE_iEESI_SC_Lm5ESE_iEESJ_iiiiiiiii ; -- Begin function _ZN2at6native12_GLOBAL__N_143conv_depthwise3d_cuda_backward_input_kernelIN3c104HalfEfLi3ELi3ELi3ELin1ELin1ELin1ELi1ELi1ELi1EEEvN5torch10headeronly6detail27GenericPackedTensorAccessorINS7_14TensorAccessorINS3_8ArrayRefIlEEKT_Lm4ENS6_16DefaultPtrTraitsEiEENS_6detail16IndexBoundsCheckILm5EiEESD_Lm5ESE_iEENS8_INS9_ISB_SC_Lm4ESE_iEESI_SC_Lm5ESE_iEESJ_iiiiiiiii
	.p2align	8
	.type	_ZN2at6native12_GLOBAL__N_143conv_depthwise3d_cuda_backward_input_kernelIN3c104HalfEfLi3ELi3ELi3ELin1ELin1ELin1ELi1ELi1ELi1EEEvN5torch10headeronly6detail27GenericPackedTensorAccessorINS7_14TensorAccessorINS3_8ArrayRefIlEEKT_Lm4ENS6_16DefaultPtrTraitsEiEENS_6detail16IndexBoundsCheckILm5EiEESD_Lm5ESE_iEENS8_INS9_ISB_SC_Lm4ESE_iEESI_SC_Lm5ESE_iEESJ_iiiiiiiii,@function
_ZN2at6native12_GLOBAL__N_143conv_depthwise3d_cuda_backward_input_kernelIN3c104HalfEfLi3ELi3ELi3ELin1ELin1ELin1ELi1ELi1ELi1EEEvN5torch10headeronly6detail27GenericPackedTensorAccessorINS7_14TensorAccessorINS3_8ArrayRefIlEEKT_Lm4ENS6_16DefaultPtrTraitsEiEENS_6detail16IndexBoundsCheckILm5EiEESD_Lm5ESE_iEENS8_INS9_ISB_SC_Lm4ESE_iEESI_SC_Lm5ESE_iEESJ_iiiiiiiii: ; @_ZN2at6native12_GLOBAL__N_143conv_depthwise3d_cuda_backward_input_kernelIN3c104HalfEfLi3ELi3ELi3ELin1ELin1ELin1ELi1ELi1ELi1EEEvN5torch10headeronly6detail27GenericPackedTensorAccessorINS7_14TensorAccessorINS3_8ArrayRefIlEEKT_Lm4ENS6_16DefaultPtrTraitsEiEENS_6detail16IndexBoundsCheckILm5EiEESD_Lm5ESE_iEENS8_INS9_ISB_SC_Lm4ESE_iEESI_SC_Lm5ESE_iEESJ_iiiiiiiii
; %bb.0:
	s_load_dwordx4 s[16:19], s[4:5], 0x38
	s_load_dwordx2 s[26:27], s[4:5], 0x48
	s_mov_b64 s[98:99], s[2:3]
	s_mov_b64 s[96:97], s[0:1]
	s_add_u32 s96, s96, s7
	s_addc_u32 s97, s97, 0
	s_waitcnt lgkmcnt(0)
	s_abs_i32 s33, s17
	v_cvt_f32_u32_e32 v2, s33
	s_load_dword s2, s[4:5], 0xc4
	s_add_u32 s0, s4, 0xb8
	v_mov_b32_e32 v1, 0
	v_rcp_iflag_f32_e32 v2, v2
	v_mov_b32_e32 v3, s6
	s_mul_i32 s34, s27, s16
	s_addc_u32 s1, s5, 0
	v_mul_f32_e32 v2, 0x4f7ffffe, v2
	v_cvt_u32_f32_e32 v2, v2
	s_waitcnt lgkmcnt(0)
	s_and_b32 s2, s2, 0xffff
	s_ashr_i32 s35, s34, 31
	v_mad_u64_u32 v[0:1], s[6:7], s2, v3, v[0:1]
	v_readfirstlane_b32 s3, v2
	v_cmp_gt_i64_e32 vcc, s[34:35], v[0:1]
	s_and_saveexec_b64 s[6:7], vcc
	s_cbranch_execz .LBB24_60
; %bb.1:
	s_load_dwordx4 s[20:23], s[4:5], 0xc
	s_load_dwordx2 s[6:7], s[4:5], 0x0
	s_sub_i32 s8, 0, s33
                                        ; implicit-def: $vgpr127 : SGPR spill to VGPR lane
	s_mul_i32 s9, s8, s3
	s_mul_hi_u32 s9, s3, s9
	s_add_i32 s3, s3, s9
	s_waitcnt lgkmcnt(0)
	v_writelane_b32 v127, s6, 0
	v_writelane_b32 v127, s7, 1
	s_abs_i32 s7, s20
	s_mul_hi_u32 s3, s7, s3
	s_mul_i32 s9, s3, s33
	s_ashr_i32 s16, s17, 31
	s_ashr_i32 s6, s20, 31
	s_sub_i32 s7, s7, s9
	s_xor_b32 s6, s6, s16
	s_add_i32 s9, s3, 1
	s_sub_i32 s10, s7, s33
	s_cmp_ge_u32 s7, s33
	s_cselect_b32 s3, s9, s3
	s_cselect_b32 s7, s10, s7
	s_add_i32 s9, s3, 1
	s_cmp_ge_u32 s7, s33
	s_cselect_b32 s3, s9, s3
	s_xor_b32 s3, s3, s6
	s_sub_i32 s20, s3, s6
	s_load_dword s3, s[0:1], 0x0
	s_load_dwordx4 s[44:47], s[4:5], 0x9c
	s_load_dword s6, s[4:5], 0x7c
	s_abs_i32 s95, s26
	v_cvt_f32_u32_e32 v3, s95
                                        ; kill: killed $sgpr0 killed $sgpr1
	s_load_dwordx2 s[0:1], s[4:5], 0x60
	s_load_dwordx4 s[28:31], s[4:5], 0x50
	s_waitcnt lgkmcnt(0)
	v_writelane_b32 v127, s6, 2
	s_load_dwordx2 s[40:41], s[4:5], 0x1c
	s_load_dwordx2 s[6:7], s[4:5], 0x30
	v_rcp_iflag_f32_e32 v3, v3
	s_load_dwordx2 s[12:13], s[4:5], 0xac
	s_abs_i32 s94, s19
	v_cvt_f32_u32_e32 v4, s94
	s_waitcnt lgkmcnt(0)
	v_writelane_b32 v127, s6, 3
	v_writelane_b32 v127, s7, 4
	v_mul_f32_e32 v3, 0x4f7ffffe, v3
	v_writelane_b32 v127, s0, 5
	v_cvt_u32_f32_e32 v3, v3
	v_writelane_b32 v127, s1, 6
	s_mul_i32 s0, s3, s2
	v_writelane_b32 v127, s0, 7
	s_lshl_b32 s0, s13, 1
	v_writelane_b32 v127, s0, 8
	s_sub_i32 s0, 0, s95
	v_mul_lo_u32 v5, s0, v3
	v_mul_hi_u32 v5, v3, v5
	v_add_u32_e32 v3, v3, v5
	s_abs_i32 s38, s18
	buffer_store_dword v3, off, s[96:99], 0 ; 4-byte Folded Spill
	v_cvt_f32_u32_e32 v3, s38
	v_rcp_iflag_f32_e32 v4, v4
	s_sub_i32 s0, 0, s94
	v_writelane_b32 v127, s12, 9
	v_rcp_iflag_f32_e32 v3, v3
	v_mul_f32_e32 v4, 0x4f7ffffe, v4
	v_cvt_u32_f32_e32 v4, v4
	v_writelane_b32 v127, s13, 10
	v_mul_f32_e32 v3, 0x4f7ffffe, v3
	v_cvt_u32_f32_e32 v3, v3
	v_mul_lo_u32 v5, s0, v4
	v_mul_hi_u32 v5, v4, v5
	v_add_u32_e32 v4, v4, v5
	s_sub_i32 s0, 0, s38
	buffer_store_dword v4, off, s[96:99], 0 offset:4 ; 4-byte Folded Spill
	v_mul_lo_u32 v4, s0, v3
	v_writelane_b32 v127, s44, 11
	v_mul_hi_u32 v4, v3, v4
	v_writelane_b32 v127, s45, 12
	v_add_u32_e32 v62, v3, v4
	v_mul_lo_u32 v3, s8, v2
	v_writelane_b32 v127, s46, 13
	v_mul_hi_u32 v3, v2, v3
	s_mov_b32 s24, 0
	s_lshl_b32 s37, s12, 1
	v_writelane_b32 v127, s47, 14
	s_lshl_b32 s44, s47, 1
	s_ashr_i32 s45, s26, 31
	s_ashr_i32 s39, s19, 31
	;; [unrolled: 1-line block ×3, first 2 shown]
	v_add_u32_e32 v63, v2, v3
	s_mov_b64 s[46:47], 0
                                        ; kill: killed $sgpr4 killed $sgpr5
	s_branch .LBB24_3
.LBB24_2:                               ;   in Loop: Header=BB24_3 Depth=1
	s_or_b64 exec, exec, s[48:49]
	v_mul_lo_u32 v2, v68, s27
	v_ashrrev_i32_e32 v3, 31, v2
	v_readlane_b32 s0, v127, 3
	v_lshlrev_b64 v[2:3], 1, v[2:3]
	v_readlane_b32 s1, v127, 4
	v_mov_b32_e32 v5, s1
	v_add_co_u32_e32 v6, vcc, s0, v2
	v_mul_lo_u32 v2, s28, v67
	v_addc_co_u32_e32 v5, vcc, v5, v3, vcc
	v_ashrrev_i32_e32 v3, 31, v2
	v_lshlrev_b64 v[2:3], 1, v[2:3]
	v_add_co_u32_e32 v6, vcc, v6, v2
	v_mul_lo_u32 v2, s29, v66
	v_addc_co_u32_e32 v5, vcc, v5, v3, vcc
	v_ashrrev_i32_e32 v3, 31, v2
	v_lshlrev_b64 v[2:3], 1, v[2:3]
	;; [unrolled: 5-line block ×4, first 2 shown]
	v_add_co_u32_e32 v2, vcc, v6, v2
	v_addc_co_u32_e32 v3, vcc, v5, v3, vcc
	v_readlane_b32 s0, v127, 7
	v_cvt_f16_f32_e32 v4, v71
	v_mov_b32_e32 v5, s24
	v_add_co_u32_e32 v0, vcc, s0, v0
	v_addc_co_u32_e32 v1, vcc, v1, v5, vcc
	v_cmp_le_i64_e32 vcc, s[34:35], v[0:1]
	s_or_b64 s[46:47], vcc, s[46:47]
	global_store_short v[2:3], v4, off
	s_andn2_b64 exec, exec, s[46:47]
	s_cbranch_execz .LBB24_60
.LBB24_3:                               ; =>This Loop Header: Depth=1
                                        ;     Child Loop BB24_6 Depth 2
	buffer_load_dword v4, off, s[96:99], 0  ; 4-byte Folded Reload
	v_sub_u32_e32 v3, 0, v0
	v_max_i32_e32 v3, v0, v3
	v_ashrrev_i32_e32 v2, 31, v0
	v_xor_b32_e32 v2, s45, v2
	v_mov_b32_e32 v71, 0
	s_waitcnt vmcnt(0)
	v_mul_hi_u32 v4, v3, v4
	v_mul_lo_u32 v5, v4, s95
	v_sub_u32_e32 v3, v3, v5
	v_add_u32_e32 v5, 1, v4
	v_cmp_le_u32_e32 vcc, s95, v3
	v_cndmask_b32_e32 v4, v4, v5, vcc
	v_subrev_u32_e32 v5, s95, v3
	v_cndmask_b32_e32 v3, v3, v5, vcc
	v_add_u32_e32 v5, 1, v4
	v_cmp_le_u32_e32 vcc, s95, v3
	v_cndmask_b32_e32 v3, v4, v5, vcc
	buffer_load_dword v5, off, s[96:99], 0 offset:4 ; 4-byte Folded Reload
	v_xor_b32_e32 v3, v3, v2
	v_sub_u32_e32 v2, v3, v2
	v_sub_u32_e32 v4, 0, v2
	v_max_i32_e32 v4, v2, v4
	v_mul_lo_u32 v3, v2, s26
	v_sub_u32_e32 v64, v0, v3
	v_ashrrev_i32_e32 v3, 31, v2
	v_xor_b32_e32 v3, s39, v3
	s_waitcnt vmcnt(0)
	v_mul_hi_u32 v5, v4, v5
	v_mul_lo_u32 v6, v5, s94
	v_sub_u32_e32 v4, v4, v6
	v_add_u32_e32 v6, 1, v5
	v_cmp_le_u32_e32 vcc, s94, v4
	v_cndmask_b32_e32 v5, v5, v6, vcc
	v_subrev_u32_e32 v6, s94, v4
	v_cndmask_b32_e32 v4, v4, v6, vcc
	v_add_u32_e32 v6, 1, v5
	v_cmp_le_u32_e32 vcc, s94, v4
	v_cndmask_b32_e32 v4, v5, v6, vcc
	v_xor_b32_e32 v4, v4, v3
	v_sub_u32_e32 v3, v4, v3
	v_mul_lo_u32 v4, v3, s19
	v_sub_u32_e32 v65, v2, v4
	v_sub_u32_e32 v4, 0, v3
	v_max_i32_e32 v4, v3, v4
	v_mul_hi_u32 v5, v4, v62
	v_mul_lo_u32 v6, v5, s38
	v_sub_u32_e32 v4, v4, v6
	v_add_u32_e32 v6, 1, v5
	v_cmp_le_u32_e32 vcc, s38, v4
	v_cndmask_b32_e32 v5, v5, v6, vcc
	v_subrev_u32_e32 v6, s38, v4
	v_cndmask_b32_e32 v4, v4, v6, vcc
	v_ashrrev_i32_e32 v2, 31, v3
	v_add_u32_e32 v6, 1, v5
	v_cmp_le_u32_e32 vcc, s38, v4
	v_xor_b32_e32 v2, s36, v2
	v_cndmask_b32_e32 v4, v5, v6, vcc
	v_xor_b32_e32 v4, v4, v2
	v_sub_u32_e32 v2, v4, v2
	v_mul_lo_u32 v4, v2, s18
	v_sub_u32_e32 v66, v3, v4
	v_sub_u32_e32 v4, 0, v2
	v_max_i32_e32 v4, v2, v4
	v_mul_hi_u32 v5, v4, v63
	v_mul_lo_u32 v6, v5, s33
	v_sub_u32_e32 v4, v4, v6
	v_add_u32_e32 v6, 1, v5
	v_cmp_le_u32_e32 vcc, s33, v4
	v_cndmask_b32_e32 v5, v5, v6, vcc
	v_subrev_u32_e32 v6, s33, v4
	v_cndmask_b32_e32 v4, v4, v6, vcc
	v_ashrrev_i32_e32 v3, 31, v2
	v_add_u32_e32 v6, 1, v5
	v_cmp_le_u32_e32 vcc, s33, v4
	v_xor_b32_e32 v3, s16, v3
	v_cndmask_b32_e32 v4, v5, v6, vcc
	v_xor_b32_e32 v4, v4, v3
	v_sub_u32_e32 v68, v4, v3
	v_mul_lo_u32 v3, v68, s17
	v_sub_u32_e32 v67, v2, v3
	v_mul_lo_u32 v2, v67, s20
	v_add_u32_e32 v3, s20, v2
	v_cmp_lt_i32_e32 vcc, v2, v3
	s_and_saveexec_b64 s[48:49], vcc
	s_cbranch_execz .LBB24_2
; %bb.4:                                ;   in Loop: Header=BB24_3 Depth=1
	v_readlane_b32 s0, v127, 2
	v_mul_lo_u32 v2, s0, v2
	v_ashrrev_i32_e32 v3, 31, v2
	v_readlane_b32 s0, v127, 5
	v_lshlrev_b64 v[2:3], 1, v[2:3]
	v_readlane_b32 s1, v127, 6
	v_mov_b32_e32 v6, s1
	v_add_co_u32_e32 v2, vcc, s0, v2
	v_readlane_b32 s4, v127, 11
	v_addc_co_u32_e32 v3, vcc, v6, v3, vcc
	v_mul_lo_u32 v6, s40, v68
	v_readlane_b32 s5, v127, 12
	v_readlane_b32 s6, v127, 13
	v_ashrrev_i32_e32 v7, 31, v6
	v_readlane_b32 s0, v127, 0
	v_readlane_b32 s7, v127, 14
	v_add_u32_e32 v10, s4, v66
	v_add_u32_e32 v5, s5, v65
	;; [unrolled: 1-line block ×3, first 2 shown]
	v_lshlrev_b64 v[6:7], 1, v[6:7]
	v_readlane_b32 s1, v127, 1
	v_mov_b32_e32 v8, s1
	v_add_co_u32_e32 v69, vcc, s0, v6
	v_readlane_b32 s2, v127, 9
	v_or_b32_e32 v6, v4, v5
	v_subrev_u32_e32 v9, s44, v10
	v_subrev_u32_e32 v12, s7, v10
	v_addc_co_u32_e32 v70, vcc, v8, v7, vcc
	v_readlane_b32 s3, v127, 10
	v_or_b32_e32 v15, v6, v9
	v_or_b32_e32 v16, v6, v12
	;; [unrolled: 1-line block ×3, first 2 shown]
	v_cmp_lt_i32_e64 s[0:1], -1, v6
	v_cmp_gt_i32_e32 vcc, s23, v4
	v_subrev_u32_e32 v6, s3, v4
	v_cmp_gt_i32_e64 s[8:9], s22, v5
	s_and_b64 s[0:1], vcc, s[0:1]
	v_or_b32_e32 v7, v6, v5
	v_cmp_gt_i32_e64 s[10:11], s21, v10
	s_and_b64 s[0:1], s[0:1], s[8:9]
	v_or_b32_e32 v19, v7, v9
	v_or_b32_e32 v20, v7, v12
	v_or_b32_e32 v7, v7, v10
	v_subrev_u32_e32 v11, s2, v5
	s_and_b64 s[50:51], s[0:1], s[10:11]
	v_cmp_lt_i32_e64 s[2:3], -1, v7
	v_cmp_gt_i32_e64 s[0:1], s23, v6
	s_and_b64 s[2:3], s[0:1], s[2:3]
	s_and_b64 s[2:3], s[2:3], s[8:9]
	;; [unrolled: 1-line block ×3, first 2 shown]
	v_readlane_b32 s2, v127, 8
	v_subrev_u32_e32 v7, s2, v4
	v_or_b32_e32 v23, v7, v5
	v_or_b32_e32 v24, v23, v9
	;; [unrolled: 1-line block ×5, first 2 shown]
	v_cmp_lt_i32_e64 s[4:5], -1, v23
	v_cmp_gt_i32_e64 s[2:3], s23, v7
	s_and_b64 s[4:5], s[2:3], s[4:5]
	v_or_b32_e32 v23, v14, v9
	v_or_b32_e32 v26, v14, v12
	v_or_b32_e32 v14, v14, v10
	s_and_b64 s[4:5], s[4:5], s[8:9]
	v_cmp_lt_i32_e64 s[6:7], -1, v14
	v_or_b32_e32 v18, v6, v11
	s_and_b64 s[54:55], s[4:5], s[10:11]
	v_cmp_gt_i32_e64 s[4:5], s22, v11
	s_and_b64 s[6:7], vcc, s[6:7]
	s_and_b64 s[6:7], s[6:7], s[4:5]
	v_or_b32_e32 v14, v18, v9
	v_or_b32_e32 v27, v18, v12
	;; [unrolled: 1-line block ×3, first 2 shown]
	s_and_b64 s[56:57], s[6:7], s[10:11]
	v_cmp_lt_i32_e64 s[6:7], -1, v18
	v_or_b32_e32 v22, v7, v11
	s_and_b64 s[6:7], s[0:1], s[6:7]
	v_subrev_u32_e32 v8, s37, v5
	s_and_b64 s[6:7], s[6:7], s[4:5]
	v_or_b32_e32 v18, v22, v9
	v_or_b32_e32 v28, v22, v12
	v_or_b32_e32 v22, v22, v10
	v_or_b32_e32 v13, v4, v8
	s_and_b64 s[58:59], s[6:7], s[10:11]
	v_cmp_lt_i32_e64 s[6:7], -1, v22
	s_and_b64 s[6:7], s[2:3], s[6:7]
	v_or_b32_e32 v29, v13, v10
	s_and_b64 s[6:7], s[6:7], s[4:5]
	v_cmp_lt_i32_e64 s[12:13], -1, v29
	v_or_b32_e32 v17, v6, v8
	s_and_b64 s[60:61], s[6:7], s[10:11]
	v_cmp_gt_i32_e64 s[6:7], s22, v8
	s_and_b64 s[12:13], vcc, s[12:13]
	s_and_b64 s[12:13], s[12:13], s[6:7]
	v_or_b32_e32 v30, v17, v10
	s_and_b64 s[62:63], s[12:13], s[10:11]
	v_cmp_lt_i32_e64 s[12:13], -1, v30
	v_or_b32_e32 v21, v7, v8
	s_and_b64 s[12:13], s[0:1], s[12:13]
	s_and_b64 s[12:13], s[12:13], s[6:7]
	v_or_b32_e32 v31, v21, v10
	s_and_b64 s[64:65], s[12:13], s[10:11]
	v_cmp_lt_i32_e64 s[12:13], -1, v31
	s_and_b64 s[12:13], s[2:3], s[12:13]
	s_and_b64 s[12:13], s[12:13], s[6:7]
	;; [unrolled: 1-line block ×3, first 2 shown]
	v_cmp_lt_i32_e64 s[12:13], -1, v16
	s_and_b64 s[82:83], vcc, s[8:9]
	v_cmp_gt_i32_e64 s[10:11], s21, v12
	s_and_b64 s[12:13], s[82:83], s[12:13]
	s_and_b64 s[68:69], s[12:13], s[10:11]
	v_cmp_lt_i32_e64 s[12:13], -1, v20
	s_and_b64 s[84:85], s[0:1], s[8:9]
	s_and_b64 s[12:13], s[84:85], s[12:13]
	;; [unrolled: 1-line block ×3, first 2 shown]
	v_cmp_lt_i32_e64 s[12:13], -1, v25
	s_and_b64 s[86:87], s[2:3], s[8:9]
	s_and_b64 s[8:9], s[86:87], s[12:13]
	s_and_b64 s[12:13], s[8:9], s[10:11]
	v_cmp_lt_i32_e64 s[8:9], -1, v26
	s_and_b64 s[8:9], vcc, s[8:9]
	s_and_b64 s[8:9], s[8:9], s[4:5]
	s_and_b64 s[72:73], s[8:9], s[10:11]
	v_cmp_lt_i32_e64 s[8:9], -1, v27
	s_and_b64 s[8:9], s[0:1], s[8:9]
	s_and_b64 s[8:9], s[8:9], s[4:5]
	;; [unrolled: 1-line block ×3, first 2 shown]
	v_cmp_lt_i32_e64 s[8:9], -1, v28
	s_and_b64 s[8:9], s[2:3], s[8:9]
	v_or_b32_e32 v22, v13, v12
	s_and_b64 s[8:9], s[8:9], s[4:5]
	s_and_b64 s[76:77], s[8:9], s[10:11]
	v_cmp_lt_i32_e64 s[8:9], -1, v22
	s_and_b64 s[8:9], vcc, s[8:9]
	v_or_b32_e32 v29, v17, v12
	s_and_b64 s[8:9], s[8:9], s[6:7]
	s_and_b64 s[78:79], s[8:9], s[10:11]
	v_cmp_lt_i32_e64 s[8:9], -1, v29
	s_and_b64 s[8:9], s[0:1], s[8:9]
	v_or_b32_e32 v30, v21, v12
	s_and_b64 s[8:9], s[8:9], s[6:7]
	s_and_b64 s[80:81], s[8:9], s[10:11]
	v_cmp_lt_i32_e64 s[8:9], -1, v30
	s_and_b64 s[8:9], s[2:3], s[8:9]
	s_and_b64 s[8:9], s[8:9], s[6:7]
	;; [unrolled: 1-line block ×3, first 2 shown]
	v_cmp_lt_i32_e64 s[8:9], -1, v15
	s_and_b64 s[82:83], s[82:83], s[8:9]
	v_cmp_lt_i32_e64 s[8:9], -1, v19
	s_and_b64 s[84:85], s[84:85], s[8:9]
	;; [unrolled: 2-line block ×3, first 2 shown]
	v_cmp_lt_i32_e64 s[8:9], -1, v23
	s_and_b64 s[8:9], vcc, s[8:9]
	s_and_b64 s[88:89], s[8:9], s[4:5]
	v_cmp_lt_i32_e64 s[8:9], -1, v14
	s_and_b64 s[8:9], s[0:1], s[8:9]
	s_and_b64 s[90:91], s[8:9], s[4:5]
	v_cmp_lt_i32_e64 s[8:9], -1, v18
	s_and_b64 s[8:9], s[2:3], s[8:9]
	v_or_b32_e32 v13, v13, v9
	s_and_b64 s[92:93], s[8:9], s[4:5]
	v_cmp_lt_i32_e64 s[4:5], -1, v13
	v_or_b32_e32 v13, v17, v9
	s_and_b64 s[4:5], vcc, s[4:5]
	v_cmp_lt_i32_e32 vcc, -1, v13
	v_or_b32_e32 v13, v21, v9
	s_and_b64 s[0:1], s[0:1], vcc
	v_cmp_lt_i32_e32 vcc, -1, v13
	v_mul_lo_u32 v13, v10, s22
	v_add_u32_e32 v10, v5, v13
	v_mul_lo_u32 v15, v10, s23
	v_add_u32_e32 v10, v4, v15
	v_add_u32_e32 v14, v6, v15
	;; [unrolled: 1-line block ×5, first 2 shown]
	v_mul_lo_u32 v13, v13, s23
	v_mul_lo_u32 v12, v12, s22
	v_add_u32_e32 v24, v4, v13
	v_add_u32_e32 v26, v6, v13
	;; [unrolled: 1-line block ×4, first 2 shown]
	v_mul_lo_u32 v13, v13, s23
	v_add_u32_e32 v30, v4, v13
	v_add_u32_e32 v32, v6, v13
	;; [unrolled: 1-line block ×5, first 2 shown]
	v_mul_lo_u32 v12, v12, s23
	v_add_u32_e32 v42, v4, v12
	v_add_u32_e32 v44, v6, v12
	;; [unrolled: 1-line block ×3, first 2 shown]
	v_mul_lo_u32 v12, v9, s22
	v_add_u32_e32 v5, v5, v12
	v_mul_lo_u32 v5, v5, s23
	v_add_u32_e32 v48, v4, v5
	v_add_u32_e32 v50, v6, v5
	;; [unrolled: 1-line block ×5, first 2 shown]
	v_mul_lo_u32 v15, v15, s23
	v_mul_lo_u32 v13, v13, s23
	;; [unrolled: 1-line block ×4, first 2 shown]
	s_and_b64 s[2:3], s[2:3], vcc
	s_and_b64 s[14:15], s[0:1], s[6:7]
	v_add_u32_e32 v18, v4, v15
	v_add_u32_e32 v20, v6, v15
	;; [unrolled: 1-line block ×9, first 2 shown]
	v_cmp_gt_i32_e32 vcc, s21, v9
	v_add_u32_e32 v72, v4, v5
	v_add_u32_e32 v74, v6, v8
	;; [unrolled: 1-line block ×3, first 2 shown]
	s_and_b64 s[42:43], s[4:5], s[6:7]
	s_and_b64 s[24:25], s[2:3], s[6:7]
	v_ashrrev_i32_e32 v11, 31, v10
	v_ashrrev_i32_e32 v15, 31, v14
	;; [unrolled: 1-line block ×20, first 2 shown]
	s_and_b64 s[4:5], s[86:87], vcc
	v_ashrrev_i32_e32 v53, 31, v52
	v_ashrrev_i32_e32 v73, 31, v72
	;; [unrolled: 1-line block ×5, first 2 shown]
	s_and_b64 s[86:87], s[14:15], vcc
	v_ashrrev_i32_e32 v75, 31, v74
	v_ashrrev_i32_e32 v77, 31, v76
	s_mul_i32 s14, s41, s20
	s_and_b64 s[0:1], s[82:83], vcc
	s_and_b64 s[2:3], s[84:85], vcc
	;; [unrolled: 1-line block ×7, first 2 shown]
	s_mov_b32 s24, 0
	v_lshlrev_b64 v[4:5], 1, v[10:11]
	v_lshlrev_b64 v[6:7], 1, v[14:15]
	;; [unrolled: 1-line block ×27, first 2 shown]
	s_mov_b32 s92, s20
	v_mov_b32_e32 v71, 0
	v_mul_lo_u32 v58, s14, v67
	s_branch .LBB24_6
.LBB24_5:                               ;   in Loop: Header=BB24_6 Depth=2
	s_or_b64 exec, exec, s[90:91]
	s_waitcnt vmcnt(26)
	v_fma_mix_f32 v59, v59, v72, v71 op_sel_hi:[0,1,0]
	s_waitcnt vmcnt(25)
	v_fma_mix_f32 v59, v77, v75, v59 op_sel_hi:[0,1,0]
	;; [unrolled: 2-line block ×26, first 2 shown]
	v_add_co_u32_e32 v2, vcc, 54, v2
	s_add_i32 s92, s92, -1
	s_waitcnt vmcnt(0)
	v_fma_mix_f32 v71, v124, v126, v59 op_sel_hi:[0,1,0]
	v_addc_co_u32_e32 v3, vcc, 0, v3, vcc
	s_cmp_eq_u32 s92, 0
	v_add_u32_e32 v58, s41, v58
	s_cbranch_scc1 .LBB24_2
.LBB24_6:                               ;   Parent Loop BB24_3 Depth=1
                                        ; =>  This Inner Loop Header: Depth=2
	global_load_ushort v72, v[2:3], off
	v_ashrrev_i32_e32 v59, 31, v58
	v_lshlrev_b64 v[74:75], 1, v[58:59]
	v_add_co_u32_e32 v73, vcc, v69, v74
	v_addc_co_u32_e32 v74, vcc, v70, v75, vcc
	v_mov_b32_e32 v59, 0
	s_and_saveexec_b64 s[90:91], s[50:51]
	s_cbranch_execz .LBB24_8
; %bb.7:                                ;   in Loop: Header=BB24_6 Depth=2
	v_add_co_u32_e32 v76, vcc, v73, v4
	v_addc_co_u32_e32 v77, vcc, v74, v5, vcc
	global_load_ushort v59, v[76:77], off
	s_waitcnt vmcnt(0)
	v_cvt_f32_f16_e32 v59, v59
.LBB24_8:                               ;   in Loop: Header=BB24_6 Depth=2
	s_or_b64 exec, exec, s[90:91]
	global_load_ushort v75, v[2:3], off offset:2
	v_mov_b32_e32 v76, 0
	v_mov_b32_e32 v77, 0
	s_and_saveexec_b64 s[90:91], s[52:53]
	s_cbranch_execz .LBB24_10
; %bb.9:                                ;   in Loop: Header=BB24_6 Depth=2
	v_add_co_u32_e32 v78, vcc, v73, v6
	v_addc_co_u32_e32 v79, vcc, v74, v7, vcc
	global_load_ushort v60, v[78:79], off
	s_waitcnt vmcnt(0)
	v_cvt_f32_f16_e32 v77, v60
.LBB24_10:                              ;   in Loop: Header=BB24_6 Depth=2
	s_or_b64 exec, exec, s[90:91]
	global_load_ushort v78, v[2:3], off offset:4
	s_and_saveexec_b64 s[90:91], s[54:55]
	s_cbranch_execz .LBB24_12
; %bb.11:                               ;   in Loop: Header=BB24_6 Depth=2
	v_add_co_u32_e32 v80, vcc, v73, v8
	v_addc_co_u32_e32 v81, vcc, v74, v9, vcc
	global_load_ushort v60, v[80:81], off
	s_waitcnt vmcnt(0)
	v_cvt_f32_f16_e32 v76, v60
.LBB24_12:                              ;   in Loop: Header=BB24_6 Depth=2
	s_or_b64 exec, exec, s[90:91]
	global_load_ushort v79, v[2:3], off offset:6
	v_mov_b32_e32 v80, 0
	v_mov_b32_e32 v81, 0
	s_and_saveexec_b64 s[90:91], s[56:57]
	s_cbranch_execz .LBB24_14
; %bb.13:                               ;   in Loop: Header=BB24_6 Depth=2
	v_add_co_u32_e32 v82, vcc, v73, v10
	v_addc_co_u32_e32 v83, vcc, v74, v11, vcc
	global_load_ushort v60, v[82:83], off
	s_waitcnt vmcnt(0)
	v_cvt_f32_f16_e32 v81, v60
.LBB24_14:                              ;   in Loop: Header=BB24_6 Depth=2
	s_or_b64 exec, exec, s[90:91]
	global_load_ushort v82, v[2:3], off offset:8
	s_and_saveexec_b64 s[90:91], s[58:59]
	s_cbranch_execz .LBB24_16
; %bb.15:                               ;   in Loop: Header=BB24_6 Depth=2
	v_add_co_u32_e32 v84, vcc, v73, v12
	v_addc_co_u32_e32 v85, vcc, v74, v13, vcc
	global_load_ushort v60, v[84:85], off
	s_waitcnt vmcnt(0)
	v_cvt_f32_f16_e32 v80, v60
.LBB24_16:                              ;   in Loop: Header=BB24_6 Depth=2
	s_or_b64 exec, exec, s[90:91]
	global_load_ushort v83, v[2:3], off offset:10
	v_mov_b32_e32 v84, 0
	v_mov_b32_e32 v85, 0
	s_and_saveexec_b64 s[90:91], s[60:61]
	s_cbranch_execz .LBB24_18
; %bb.17:                               ;   in Loop: Header=BB24_6 Depth=2
	v_add_co_u32_e32 v86, vcc, v73, v14
	v_addc_co_u32_e32 v87, vcc, v74, v15, vcc
	global_load_ushort v60, v[86:87], off
	s_waitcnt vmcnt(0)
	v_cvt_f32_f16_e32 v85, v60
.LBB24_18:                              ;   in Loop: Header=BB24_6 Depth=2
	s_or_b64 exec, exec, s[90:91]
	global_load_ushort v86, v[2:3], off offset:12
	s_and_saveexec_b64 s[90:91], s[62:63]
	s_cbranch_execz .LBB24_20
; %bb.19:                               ;   in Loop: Header=BB24_6 Depth=2
	v_add_co_u32_e32 v88, vcc, v73, v16
	v_addc_co_u32_e32 v89, vcc, v74, v17, vcc
	global_load_ushort v60, v[88:89], off
	s_waitcnt vmcnt(0)
	v_cvt_f32_f16_e32 v84, v60
.LBB24_20:                              ;   in Loop: Header=BB24_6 Depth=2
	s_or_b64 exec, exec, s[90:91]
	global_load_ushort v87, v[2:3], off offset:14
	v_mov_b32_e32 v88, 0
	v_mov_b32_e32 v89, 0
	s_and_saveexec_b64 s[90:91], s[64:65]
	s_cbranch_execz .LBB24_22
; %bb.21:                               ;   in Loop: Header=BB24_6 Depth=2
	v_add_co_u32_e32 v90, vcc, v73, v18
	v_addc_co_u32_e32 v91, vcc, v74, v19, vcc
	global_load_ushort v60, v[90:91], off
	s_waitcnt vmcnt(0)
	v_cvt_f32_f16_e32 v89, v60
.LBB24_22:                              ;   in Loop: Header=BB24_6 Depth=2
	s_or_b64 exec, exec, s[90:91]
	global_load_ushort v90, v[2:3], off offset:16
	s_and_saveexec_b64 s[90:91], s[66:67]
	s_cbranch_execz .LBB24_24
; %bb.23:                               ;   in Loop: Header=BB24_6 Depth=2
	v_add_co_u32_e32 v92, vcc, v73, v20
	v_addc_co_u32_e32 v93, vcc, v74, v21, vcc
	global_load_ushort v60, v[92:93], off
	s_waitcnt vmcnt(0)
	v_cvt_f32_f16_e32 v88, v60
.LBB24_24:                              ;   in Loop: Header=BB24_6 Depth=2
	s_or_b64 exec, exec, s[90:91]
	global_load_ushort v91, v[2:3], off offset:18
	v_mov_b32_e32 v92, 0
	v_mov_b32_e32 v93, 0
	s_and_saveexec_b64 s[90:91], s[68:69]
	s_cbranch_execz .LBB24_26
; %bb.25:                               ;   in Loop: Header=BB24_6 Depth=2
	v_add_co_u32_e32 v94, vcc, v73, v22
	v_addc_co_u32_e32 v95, vcc, v74, v23, vcc
	global_load_ushort v60, v[94:95], off
	s_waitcnt vmcnt(0)
	v_cvt_f32_f16_e32 v93, v60
.LBB24_26:                              ;   in Loop: Header=BB24_6 Depth=2
	s_or_b64 exec, exec, s[90:91]
	global_load_ushort v94, v[2:3], off offset:20
	s_and_saveexec_b64 s[90:91], s[70:71]
	s_cbranch_execz .LBB24_28
; %bb.27:                               ;   in Loop: Header=BB24_6 Depth=2
	v_add_co_u32_e32 v96, vcc, v73, v24
	v_addc_co_u32_e32 v97, vcc, v74, v25, vcc
	global_load_ushort v60, v[96:97], off
	s_waitcnt vmcnt(0)
	v_cvt_f32_f16_e32 v92, v60
.LBB24_28:                              ;   in Loop: Header=BB24_6 Depth=2
	s_or_b64 exec, exec, s[90:91]
	global_load_ushort v95, v[2:3], off offset:22
	v_mov_b32_e32 v96, 0
	v_mov_b32_e32 v97, 0
	s_and_saveexec_b64 s[90:91], s[12:13]
	s_cbranch_execz .LBB24_30
; %bb.29:                               ;   in Loop: Header=BB24_6 Depth=2
	v_add_co_u32_e32 v98, vcc, v73, v26
	v_addc_co_u32_e32 v99, vcc, v74, v27, vcc
	global_load_ushort v60, v[98:99], off
	s_waitcnt vmcnt(0)
	v_cvt_f32_f16_e32 v97, v60
.LBB24_30:                              ;   in Loop: Header=BB24_6 Depth=2
	s_or_b64 exec, exec, s[90:91]
	global_load_ushort v98, v[2:3], off offset:24
	s_and_saveexec_b64 s[90:91], s[72:73]
	s_cbranch_execz .LBB24_32
; %bb.31:                               ;   in Loop: Header=BB24_6 Depth=2
	v_add_co_u32_e32 v100, vcc, v73, v28
	v_addc_co_u32_e32 v101, vcc, v74, v29, vcc
	global_load_ushort v60, v[100:101], off
	s_waitcnt vmcnt(0)
	v_cvt_f32_f16_e32 v96, v60
.LBB24_32:                              ;   in Loop: Header=BB24_6 Depth=2
	s_or_b64 exec, exec, s[90:91]
	global_load_ushort v99, v[2:3], off offset:26
	v_mov_b32_e32 v100, 0
	v_mov_b32_e32 v101, 0
	s_and_saveexec_b64 s[90:91], s[74:75]
	s_cbranch_execz .LBB24_34
; %bb.33:                               ;   in Loop: Header=BB24_6 Depth=2
	v_add_co_u32_e32 v102, vcc, v73, v30
	v_addc_co_u32_e32 v103, vcc, v74, v31, vcc
	global_load_ushort v60, v[102:103], off
	s_waitcnt vmcnt(0)
	v_cvt_f32_f16_e32 v101, v60
.LBB24_34:                              ;   in Loop: Header=BB24_6 Depth=2
	s_or_b64 exec, exec, s[90:91]
	global_load_ushort v102, v[2:3], off offset:28
	s_and_saveexec_b64 s[90:91], s[76:77]
	s_cbranch_execz .LBB24_36
; %bb.35:                               ;   in Loop: Header=BB24_6 Depth=2
	v_add_co_u32_e32 v104, vcc, v73, v32
	v_addc_co_u32_e32 v105, vcc, v74, v33, vcc
	global_load_ushort v60, v[104:105], off
	s_waitcnt vmcnt(0)
	v_cvt_f32_f16_e32 v100, v60
.LBB24_36:                              ;   in Loop: Header=BB24_6 Depth=2
	s_or_b64 exec, exec, s[90:91]
	global_load_ushort v103, v[2:3], off offset:30
	v_mov_b32_e32 v104, 0
	v_mov_b32_e32 v105, 0
	s_and_saveexec_b64 s[90:91], s[78:79]
	s_cbranch_execz .LBB24_38
; %bb.37:                               ;   in Loop: Header=BB24_6 Depth=2
	v_add_co_u32_e32 v106, vcc, v73, v34
	v_addc_co_u32_e32 v107, vcc, v74, v35, vcc
	global_load_ushort v60, v[106:107], off
	s_waitcnt vmcnt(0)
	v_cvt_f32_f16_e32 v105, v60
.LBB24_38:                              ;   in Loop: Header=BB24_6 Depth=2
	s_or_b64 exec, exec, s[90:91]
	global_load_ushort v106, v[2:3], off offset:32
	s_and_saveexec_b64 s[90:91], s[80:81]
	s_cbranch_execz .LBB24_40
; %bb.39:                               ;   in Loop: Header=BB24_6 Depth=2
	v_add_co_u32_e32 v108, vcc, v73, v36
	v_addc_co_u32_e32 v109, vcc, v74, v37, vcc
	global_load_ushort v60, v[108:109], off
	s_waitcnt vmcnt(0)
	v_cvt_f32_f16_e32 v104, v60
.LBB24_40:                              ;   in Loop: Header=BB24_6 Depth=2
	s_or_b64 exec, exec, s[90:91]
	global_load_ushort v107, v[2:3], off offset:34
	v_mov_b32_e32 v108, 0
	v_mov_b32_e32 v109, 0
	s_and_saveexec_b64 s[90:91], s[10:11]
	s_cbranch_execz .LBB24_42
; %bb.41:                               ;   in Loop: Header=BB24_6 Depth=2
	v_add_co_u32_e32 v110, vcc, v73, v38
	v_addc_co_u32_e32 v111, vcc, v74, v39, vcc
	global_load_ushort v60, v[110:111], off
	s_waitcnt vmcnt(0)
	v_cvt_f32_f16_e32 v109, v60
.LBB24_42:                              ;   in Loop: Header=BB24_6 Depth=2
	s_or_b64 exec, exec, s[90:91]
	global_load_ushort v110, v[2:3], off offset:36
	s_and_saveexec_b64 s[90:91], s[0:1]
	s_cbranch_execz .LBB24_44
; %bb.43:                               ;   in Loop: Header=BB24_6 Depth=2
	v_add_co_u32_e32 v112, vcc, v73, v40
	v_addc_co_u32_e32 v113, vcc, v74, v41, vcc
	global_load_ushort v60, v[112:113], off
	s_waitcnt vmcnt(0)
	v_cvt_f32_f16_e32 v108, v60
.LBB24_44:                              ;   in Loop: Header=BB24_6 Depth=2
	s_or_b64 exec, exec, s[90:91]
	global_load_ushort v111, v[2:3], off offset:38
	v_mov_b32_e32 v112, 0
	v_mov_b32_e32 v113, 0
	s_and_saveexec_b64 s[90:91], s[2:3]
	s_cbranch_execz .LBB24_46
; %bb.45:                               ;   in Loop: Header=BB24_6 Depth=2
	v_add_co_u32_e32 v114, vcc, v73, v42
	v_addc_co_u32_e32 v115, vcc, v74, v43, vcc
	global_load_ushort v60, v[114:115], off
	s_waitcnt vmcnt(0)
	v_cvt_f32_f16_e32 v113, v60
.LBB24_46:                              ;   in Loop: Header=BB24_6 Depth=2
	s_or_b64 exec, exec, s[90:91]
	global_load_ushort v114, v[2:3], off offset:40
	s_and_saveexec_b64 s[90:91], s[4:5]
	s_cbranch_execz .LBB24_48
; %bb.47:                               ;   in Loop: Header=BB24_6 Depth=2
	v_add_co_u32_e32 v116, vcc, v73, v44
	v_addc_co_u32_e32 v117, vcc, v74, v45, vcc
	global_load_ushort v60, v[116:117], off
	s_waitcnt vmcnt(0)
	v_cvt_f32_f16_e32 v112, v60
.LBB24_48:                              ;   in Loop: Header=BB24_6 Depth=2
	s_or_b64 exec, exec, s[90:91]
	global_load_ushort v115, v[2:3], off offset:42
	v_mov_b32_e32 v116, 0
	v_mov_b32_e32 v117, 0
	s_and_saveexec_b64 s[90:91], s[6:7]
	s_cbranch_execz .LBB24_50
; %bb.49:                               ;   in Loop: Header=BB24_6 Depth=2
	v_add_co_u32_e32 v118, vcc, v73, v46
	v_addc_co_u32_e32 v119, vcc, v74, v47, vcc
	global_load_ushort v60, v[118:119], off
	s_waitcnt vmcnt(0)
	v_cvt_f32_f16_e32 v117, v60
.LBB24_50:                              ;   in Loop: Header=BB24_6 Depth=2
	s_or_b64 exec, exec, s[90:91]
	global_load_ushort v118, v[2:3], off offset:44
	s_and_saveexec_b64 s[90:91], s[8:9]
	s_cbranch_execz .LBB24_52
; %bb.51:                               ;   in Loop: Header=BB24_6 Depth=2
	v_add_co_u32_e32 v120, vcc, v73, v48
	v_addc_co_u32_e32 v121, vcc, v74, v49, vcc
	global_load_ushort v60, v[120:121], off
	s_waitcnt vmcnt(0)
	v_cvt_f32_f16_e32 v116, v60
.LBB24_52:                              ;   in Loop: Header=BB24_6 Depth=2
	s_or_b64 exec, exec, s[90:91]
	global_load_ushort v119, v[2:3], off offset:46
	v_mov_b32_e32 v120, 0
	v_mov_b32_e32 v121, 0
	s_and_saveexec_b64 s[90:91], s[82:83]
	s_cbranch_execz .LBB24_54
; %bb.53:                               ;   in Loop: Header=BB24_6 Depth=2
	v_add_co_u32_e32 v122, vcc, v73, v50
	v_addc_co_u32_e32 v123, vcc, v74, v51, vcc
	global_load_ushort v60, v[122:123], off
	s_waitcnt vmcnt(0)
	v_cvt_f32_f16_e32 v121, v60
.LBB24_54:                              ;   in Loop: Header=BB24_6 Depth=2
	s_or_b64 exec, exec, s[90:91]
	global_load_ushort v122, v[2:3], off offset:48
	s_and_saveexec_b64 s[90:91], s[84:85]
	s_cbranch_execz .LBB24_56
; %bb.55:                               ;   in Loop: Header=BB24_6 Depth=2
	v_add_co_u32_e32 v124, vcc, v73, v52
	v_addc_co_u32_e32 v125, vcc, v74, v53, vcc
	global_load_ushort v60, v[124:125], off
	s_waitcnt vmcnt(0)
	v_cvt_f32_f16_e32 v120, v60
.LBB24_56:                              ;   in Loop: Header=BB24_6 Depth=2
	s_or_b64 exec, exec, s[90:91]
	global_load_ushort v123, v[2:3], off offset:50
	v_mov_b32_e32 v124, 0
	v_mov_b32_e32 v125, 0
	s_and_saveexec_b64 s[90:91], s[86:87]
	s_cbranch_execz .LBB24_58
; %bb.57:                               ;   in Loop: Header=BB24_6 Depth=2
	v_add_co_u32_e32 v60, vcc, v73, v54
	v_addc_co_u32_e32 v61, vcc, v74, v55, vcc
	global_load_ushort v60, v[60:61], off
	s_waitcnt vmcnt(0)
	v_cvt_f32_f16_e32 v125, v60
.LBB24_58:                              ;   in Loop: Header=BB24_6 Depth=2
	s_or_b64 exec, exec, s[90:91]
	global_load_ushort v126, v[2:3], off offset:52
	s_and_saveexec_b64 s[90:91], s[88:89]
	s_cbranch_execz .LBB24_5
; %bb.59:                               ;   in Loop: Header=BB24_6 Depth=2
	v_add_co_u32_e32 v60, vcc, v73, v56
	v_addc_co_u32_e32 v61, vcc, v74, v57, vcc
	global_load_ushort v60, v[60:61], off
	s_waitcnt vmcnt(0)
	v_cvt_f32_f16_e32 v124, v60
	s_branch .LBB24_5
.LBB24_60:
	s_endpgm
	.section	.rodata,"a",@progbits
	.p2align	6, 0x0
	.amdhsa_kernel _ZN2at6native12_GLOBAL__N_143conv_depthwise3d_cuda_backward_input_kernelIN3c104HalfEfLi3ELi3ELi3ELin1ELin1ELin1ELi1ELi1ELi1EEEvN5torch10headeronly6detail27GenericPackedTensorAccessorINS7_14TensorAccessorINS3_8ArrayRefIlEEKT_Lm4ENS6_16DefaultPtrTraitsEiEENS_6detail16IndexBoundsCheckILm5EiEESD_Lm5ESE_iEENS8_INS9_ISB_SC_Lm4ESE_iEESI_SC_Lm5ESE_iEESJ_iiiiiiiii
		.amdhsa_group_segment_fixed_size 0
		.amdhsa_private_segment_fixed_size 12
		.amdhsa_kernarg_size 440
		.amdhsa_user_sgpr_count 6
		.amdhsa_user_sgpr_private_segment_buffer 1
		.amdhsa_user_sgpr_dispatch_ptr 0
		.amdhsa_user_sgpr_queue_ptr 0
		.amdhsa_user_sgpr_kernarg_segment_ptr 1
		.amdhsa_user_sgpr_dispatch_id 0
		.amdhsa_user_sgpr_flat_scratch_init 0
		.amdhsa_user_sgpr_kernarg_preload_length 0
		.amdhsa_user_sgpr_kernarg_preload_offset 0
		.amdhsa_user_sgpr_private_segment_size 0
		.amdhsa_uses_dynamic_stack 0
		.amdhsa_system_sgpr_private_segment_wavefront_offset 1
		.amdhsa_system_sgpr_workgroup_id_x 1
		.amdhsa_system_sgpr_workgroup_id_y 0
		.amdhsa_system_sgpr_workgroup_id_z 0
		.amdhsa_system_sgpr_workgroup_info 0
		.amdhsa_system_vgpr_workitem_id 0
		.amdhsa_next_free_vgpr 128
		.amdhsa_next_free_sgpr 100
		.amdhsa_accum_offset 128
		.amdhsa_reserve_vcc 1
		.amdhsa_reserve_flat_scratch 0
		.amdhsa_float_round_mode_32 0
		.amdhsa_float_round_mode_16_64 0
		.amdhsa_float_denorm_mode_32 3
		.amdhsa_float_denorm_mode_16_64 3
		.amdhsa_dx10_clamp 1
		.amdhsa_ieee_mode 1
		.amdhsa_fp16_overflow 0
		.amdhsa_tg_split 0
		.amdhsa_exception_fp_ieee_invalid_op 0
		.amdhsa_exception_fp_denorm_src 0
		.amdhsa_exception_fp_ieee_div_zero 0
		.amdhsa_exception_fp_ieee_overflow 0
		.amdhsa_exception_fp_ieee_underflow 0
		.amdhsa_exception_fp_ieee_inexact 0
		.amdhsa_exception_int_div_zero 0
	.end_amdhsa_kernel
	.section	.text._ZN2at6native12_GLOBAL__N_143conv_depthwise3d_cuda_backward_input_kernelIN3c104HalfEfLi3ELi3ELi3ELin1ELin1ELin1ELi1ELi1ELi1EEEvN5torch10headeronly6detail27GenericPackedTensorAccessorINS7_14TensorAccessorINS3_8ArrayRefIlEEKT_Lm4ENS6_16DefaultPtrTraitsEiEENS_6detail16IndexBoundsCheckILm5EiEESD_Lm5ESE_iEENS8_INS9_ISB_SC_Lm4ESE_iEESI_SC_Lm5ESE_iEESJ_iiiiiiiii,"axG",@progbits,_ZN2at6native12_GLOBAL__N_143conv_depthwise3d_cuda_backward_input_kernelIN3c104HalfEfLi3ELi3ELi3ELin1ELin1ELin1ELi1ELi1ELi1EEEvN5torch10headeronly6detail27GenericPackedTensorAccessorINS7_14TensorAccessorINS3_8ArrayRefIlEEKT_Lm4ENS6_16DefaultPtrTraitsEiEENS_6detail16IndexBoundsCheckILm5EiEESD_Lm5ESE_iEENS8_INS9_ISB_SC_Lm4ESE_iEESI_SC_Lm5ESE_iEESJ_iiiiiiiii,comdat
.Lfunc_end24:
	.size	_ZN2at6native12_GLOBAL__N_143conv_depthwise3d_cuda_backward_input_kernelIN3c104HalfEfLi3ELi3ELi3ELin1ELin1ELin1ELi1ELi1ELi1EEEvN5torch10headeronly6detail27GenericPackedTensorAccessorINS7_14TensorAccessorINS3_8ArrayRefIlEEKT_Lm4ENS6_16DefaultPtrTraitsEiEENS_6detail16IndexBoundsCheckILm5EiEESD_Lm5ESE_iEENS8_INS9_ISB_SC_Lm4ESE_iEESI_SC_Lm5ESE_iEESJ_iiiiiiiii, .Lfunc_end24-_ZN2at6native12_GLOBAL__N_143conv_depthwise3d_cuda_backward_input_kernelIN3c104HalfEfLi3ELi3ELi3ELin1ELin1ELin1ELi1ELi1ELi1EEEvN5torch10headeronly6detail27GenericPackedTensorAccessorINS7_14TensorAccessorINS3_8ArrayRefIlEEKT_Lm4ENS6_16DefaultPtrTraitsEiEENS_6detail16IndexBoundsCheckILm5EiEESD_Lm5ESE_iEENS8_INS9_ISB_SC_Lm4ESE_iEESI_SC_Lm5ESE_iEESJ_iiiiiiiii
                                        ; -- End function
	.section	.AMDGPU.csdata,"",@progbits
; Kernel info:
; codeLenInByte = 4452
; NumSgprs: 104
; NumVgprs: 128
; NumAgprs: 0
; TotalNumVgprs: 128
; ScratchSize: 12
; MemoryBound: 0
; FloatMode: 240
; IeeeMode: 1
; LDSByteSize: 0 bytes/workgroup (compile time only)
; SGPRBlocks: 12
; VGPRBlocks: 15
; NumSGPRsForWavesPerEU: 104
; NumVGPRsForWavesPerEU: 128
; AccumOffset: 128
; Occupancy: 4
; WaveLimiterHint : 0
; COMPUTE_PGM_RSRC2:SCRATCH_EN: 1
; COMPUTE_PGM_RSRC2:USER_SGPR: 6
; COMPUTE_PGM_RSRC2:TRAP_HANDLER: 0
; COMPUTE_PGM_RSRC2:TGID_X_EN: 1
; COMPUTE_PGM_RSRC2:TGID_Y_EN: 0
; COMPUTE_PGM_RSRC2:TGID_Z_EN: 0
; COMPUTE_PGM_RSRC2:TIDIG_COMP_CNT: 0
; COMPUTE_PGM_RSRC3_GFX90A:ACCUM_OFFSET: 31
; COMPUTE_PGM_RSRC3_GFX90A:TG_SPLIT: 0
	.section	.text._ZN2at6native12_GLOBAL__N_143conv_depthwise3d_cuda_backward_input_kernelIN3c104HalfEfLi3ELi3ELi3ELin1ELin1ELin1ELin1ELin1ELin1EEEvN5torch10headeronly6detail27GenericPackedTensorAccessorINS7_14TensorAccessorINS3_8ArrayRefIlEEKT_Lm4ENS6_16DefaultPtrTraitsEiEENS_6detail16IndexBoundsCheckILm5EiEESD_Lm5ESE_iEENS8_INS9_ISB_SC_Lm4ESE_iEESI_SC_Lm5ESE_iEESJ_iiiiiiiii,"axG",@progbits,_ZN2at6native12_GLOBAL__N_143conv_depthwise3d_cuda_backward_input_kernelIN3c104HalfEfLi3ELi3ELi3ELin1ELin1ELin1ELin1ELin1ELin1EEEvN5torch10headeronly6detail27GenericPackedTensorAccessorINS7_14TensorAccessorINS3_8ArrayRefIlEEKT_Lm4ENS6_16DefaultPtrTraitsEiEENS_6detail16IndexBoundsCheckILm5EiEESD_Lm5ESE_iEENS8_INS9_ISB_SC_Lm4ESE_iEESI_SC_Lm5ESE_iEESJ_iiiiiiiii,comdat
	.globl	_ZN2at6native12_GLOBAL__N_143conv_depthwise3d_cuda_backward_input_kernelIN3c104HalfEfLi3ELi3ELi3ELin1ELin1ELin1ELin1ELin1ELin1EEEvN5torch10headeronly6detail27GenericPackedTensorAccessorINS7_14TensorAccessorINS3_8ArrayRefIlEEKT_Lm4ENS6_16DefaultPtrTraitsEiEENS_6detail16IndexBoundsCheckILm5EiEESD_Lm5ESE_iEENS8_INS9_ISB_SC_Lm4ESE_iEESI_SC_Lm5ESE_iEESJ_iiiiiiiii ; -- Begin function _ZN2at6native12_GLOBAL__N_143conv_depthwise3d_cuda_backward_input_kernelIN3c104HalfEfLi3ELi3ELi3ELin1ELin1ELin1ELin1ELin1ELin1EEEvN5torch10headeronly6detail27GenericPackedTensorAccessorINS7_14TensorAccessorINS3_8ArrayRefIlEEKT_Lm4ENS6_16DefaultPtrTraitsEiEENS_6detail16IndexBoundsCheckILm5EiEESD_Lm5ESE_iEENS8_INS9_ISB_SC_Lm4ESE_iEESI_SC_Lm5ESE_iEESJ_iiiiiiiii
	.p2align	8
	.type	_ZN2at6native12_GLOBAL__N_143conv_depthwise3d_cuda_backward_input_kernelIN3c104HalfEfLi3ELi3ELi3ELin1ELin1ELin1ELin1ELin1ELin1EEEvN5torch10headeronly6detail27GenericPackedTensorAccessorINS7_14TensorAccessorINS3_8ArrayRefIlEEKT_Lm4ENS6_16DefaultPtrTraitsEiEENS_6detail16IndexBoundsCheckILm5EiEESD_Lm5ESE_iEENS8_INS9_ISB_SC_Lm4ESE_iEESI_SC_Lm5ESE_iEESJ_iiiiiiiii,@function
_ZN2at6native12_GLOBAL__N_143conv_depthwise3d_cuda_backward_input_kernelIN3c104HalfEfLi3ELi3ELi3ELin1ELin1ELin1ELin1ELin1ELin1EEEvN5torch10headeronly6detail27GenericPackedTensorAccessorINS7_14TensorAccessorINS3_8ArrayRefIlEEKT_Lm4ENS6_16DefaultPtrTraitsEiEENS_6detail16IndexBoundsCheckILm5EiEESD_Lm5ESE_iEENS8_INS9_ISB_SC_Lm4ESE_iEESI_SC_Lm5ESE_iEESJ_iiiiiiiii: ; @_ZN2at6native12_GLOBAL__N_143conv_depthwise3d_cuda_backward_input_kernelIN3c104HalfEfLi3ELi3ELi3ELin1ELin1ELin1ELin1ELin1ELin1EEEvN5torch10headeronly6detail27GenericPackedTensorAccessorINS7_14TensorAccessorINS3_8ArrayRefIlEEKT_Lm4ENS6_16DefaultPtrTraitsEiEENS_6detail16IndexBoundsCheckILm5EiEESD_Lm5ESE_iEENS8_INS9_ISB_SC_Lm4ESE_iEESI_SC_Lm5ESE_iEESJ_iiiiiiiii
; %bb.0:
	s_load_dwordx4 s[8:11], s[4:5], 0x38
	s_load_dwordx2 s[16:17], s[4:5], 0x48
	s_mov_b64 s[98:99], s[2:3]
	s_mov_b64 s[96:97], s[0:1]
	s_add_u32 s96, s96, s7
	s_addc_u32 s97, s97, 0
	s_waitcnt lgkmcnt(0)
	s_abs_i32 s0, s9
	v_cvt_f32_u32_e32 v2, s0
                                        ; implicit-def: $vgpr126 : SGPR spill to VGPR lane
	s_load_dword s2, s[4:5], 0xc4
	v_writelane_b32 v126, s0, 0
	v_writelane_b32 v126, s8, 1
	v_rcp_iflag_f32_e32 v2, v2
	v_writelane_b32 v126, s9, 2
	v_writelane_b32 v126, s10, 3
	;; [unrolled: 1-line block ×3, first 2 shown]
	v_mul_f32_e32 v2, 0x4f7ffffe, v2
	v_cvt_u32_f32_e32 v2, v2
	s_mul_i32 s8, s17, s8
	s_add_u32 s0, s4, 0xb8
	v_mov_b32_e32 v1, 0
	v_mov_b32_e32 v3, s6
	s_addc_u32 s1, s5, 0
	s_waitcnt lgkmcnt(0)
	s_and_b32 s2, s2, 0xffff
	s_ashr_i32 s9, s8, 31
	v_mad_u64_u32 v[0:1], s[6:7], s2, v3, v[0:1]
	v_writelane_b32 v126, s8, 5
	v_readfirstlane_b32 s3, v2
	v_writelane_b32 v126, s9, 6
	v_cmp_gt_i64_e32 vcc, s[8:9], v[0:1]
	s_and_saveexec_b64 s[6:7], vcc
	s_cbranch_execz .LBB25_60
; %bb.1:
	s_load_dwordx2 s[6:7], s[4:5], 0x0
	s_load_dwordx4 s[28:31], s[4:5], 0x50
	s_load_dwordx4 s[8:11], s[4:5], 0xc
	;; [unrolled: 1-line block ×3, first 2 shown]
	s_load_dwordx8 s[20:27], s[4:5], 0x90
	s_waitcnt lgkmcnt(0)
	s_load_dword s12, s[4:5], 0xb0
                                        ; kill: killed $sgpr0 killed $sgpr1
	s_mov_b32 s67, 0
	v_writelane_b32 v126, s6, 7
	v_writelane_b32 v126, s7, 8
	s_ashr_i32 s6, s8, 31
	v_writelane_b32 v126, s8, 9
	v_writelane_b32 v126, s9, 10
	;; [unrolled: 1-line block ×4, first 2 shown]
	v_readlane_b32 s11, v126, 0
	s_abs_i32 s7, s8
	s_sub_i32 s8, 0, s11
	s_mul_i32 s9, s8, s3
	s_mul_hi_u32 s9, s3, s9
	s_add_i32 s3, s3, s9
	s_mul_hi_u32 s3, s7, s3
	s_mul_i32 s9, s3, s11
	s_ashr_i32 s66, s13, 31
	s_sub_i32 s7, s7, s9
	s_xor_b32 s6, s6, s66
	s_add_i32 s9, s3, 1
	s_sub_i32 s10, s7, s11
	s_cmp_ge_u32 s7, s11
	s_cselect_b32 s3, s9, s3
	s_cselect_b32 s7, s10, s7
	s_add_i32 s9, s3, 1
	s_cmp_ge_u32 s7, s11
	s_cselect_b32 s3, s9, s3
	s_xor_b32 s3, s3, s6
	s_sub_i32 s6, s3, s6
	s_load_dword s3, s[0:1], 0x0
	s_load_dword s7, s[4:5], 0x7c
	s_load_dwordx2 s[10:11], s[4:5], 0x1c
	s_load_dwordx2 s[18:19], s[4:5], 0x30
	s_abs_i32 s0, s16
	v_cvt_f32_u32_e32 v3, s0
	s_waitcnt lgkmcnt(0)
	s_mul_i32 s1, s3, s2
	v_writelane_b32 v126, s7, 13
	v_writelane_b32 v126, s18, 14
	;; [unrolled: 1-line block ×3, first 2 shown]
	s_load_dwordx2 s[18:19], s[4:5], 0x60
	v_rcp_iflag_f32_e32 v3, v3
	s_abs_i32 s2, s14
                                        ; kill: killed $sgpr4 killed $sgpr5
	s_mov_b64 s[4:5], 0
	s_waitcnt lgkmcnt(0)
	v_writelane_b32 v126, s18, 16
	v_writelane_b32 v126, s19, 17
	;; [unrolled: 1-line block ×8, first 2 shown]
	s_lshl_b32 s1, s12, 1
	v_writelane_b32 v126, s1, 24
	s_lshl_b32 s1, s27, 1
	v_mul_f32_e32 v3, 0x4f7ffffe, v3
	v_writelane_b32 v126, s1, 25
	s_lshl_b32 s1, s26, 1
	v_cvt_u32_f32_e32 v3, v3
	v_writelane_b32 v126, s1, 26
	s_ashr_i32 s1, s16, 31
	v_writelane_b32 v126, s1, 27
	s_abs_i32 s1, s15
	v_writelane_b32 v126, s0, 28
	s_sub_i32 s0, 0, s0
	v_cvt_f32_u32_e32 v4, s1
	v_mul_lo_u32 v5, s0, v3
	v_mul_hi_u32 v5, v3, v5
	v_add_u32_e32 v3, v3, v5
	buffer_store_dword v3, off, s[96:99], 0 ; 4-byte Folded Spill
	v_cvt_f32_u32_e32 v3, s2
	v_rcp_iflag_f32_e32 v4, v4
	s_ashr_i32 s0, s15, 31
	v_writelane_b32 v126, s0, 29
	v_rcp_iflag_f32_e32 v3, v3
	v_mul_f32_e32 v4, 0x4f7ffffe, v4
	v_cvt_u32_f32_e32 v4, v4
	s_sub_i32 s0, 0, s1
	v_mul_f32_e32 v3, 0x4f7ffffe, v3
	v_cvt_u32_f32_e32 v3, v3
	v_mul_lo_u32 v5, s0, v4
	v_writelane_b32 v126, s1, 30
	v_mul_hi_u32 v5, v4, v5
	s_ashr_i32 s0, s14, 31
	v_add_u32_e32 v4, v4, v5
	v_writelane_b32 v126, s0, 31
	s_sub_i32 s0, 0, s2
	buffer_store_dword v4, off, s[96:99], 0 offset:4 ; 4-byte Folded Spill
	v_mul_lo_u32 v4, s0, v3
	s_abs_i32 s0, s20
	v_cvt_f32_u32_e32 v5, s0
	v_mul_hi_u32 v4, v3, v4
	v_add_u32_e32 v3, v3, v4
	buffer_store_dword v3, off, s[96:99], 0 offset:8 ; 4-byte Folded Spill
	v_rcp_iflag_f32_e32 v4, v5
	v_mul_lo_u32 v3, s8, v2
	v_mul_hi_u32 v3, v2, v3
	v_add_u32_e32 v2, v2, v3
	v_writelane_b32 v126, s2, 32
	buffer_store_dword v2, off, s[96:99], 0 offset:12 ; 4-byte Folded Spill
	s_ashr_i32 s1, s20, 31
	v_mul_f32_e32 v2, 0x4f7ffffe, v4
	v_writelane_b32 v126, s1, 33
	v_cvt_u32_f32_e32 v2, v2
	s_abs_i32 s1, s21
	v_cvt_f32_u32_e32 v3, s1
	v_writelane_b32 v126, s0, 34
	s_sub_i32 s0, 0, s0
	v_mul_lo_u32 v4, s0, v2
	s_ashr_i32 s0, s21, 31
	v_mul_hi_u32 v4, v2, v4
	v_rcp_iflag_f32_e32 v3, v3
	s_abs_i32 s2, s22
	v_writelane_b32 v126, s0, 35
	v_add_u32_e32 v64, v2, v4
	v_cvt_f32_u32_e32 v2, s2
	v_writelane_b32 v126, s1, 36
	v_writelane_b32 v126, s20, 37
	;; [unrolled: 1-line block ×3, first 2 shown]
	v_mul_f32_e32 v3, 0x4f7ffffe, v3
	v_writelane_b32 v126, s22, 39
	v_cvt_u32_f32_e32 v3, v3
	v_rcp_iflag_f32_e32 v2, v2
	v_writelane_b32 v126, s23, 40
	v_writelane_b32 v126, s24, 41
	;; [unrolled: 1-line block ×3, first 2 shown]
	s_sub_i32 s0, 0, s1
	v_writelane_b32 v126, s26, 43
	v_mul_lo_u32 v4, s0, v3
	v_mul_f32_e32 v2, 0x4f7ffffe, v2
	v_writelane_b32 v126, s27, 44
	s_ashr_i32 s0, s22, 31
	v_cvt_u32_f32_e32 v2, v2
	v_writelane_b32 v126, s0, 45
	v_writelane_b32 v126, s2, 46
	;; [unrolled: 1-line block ×3, first 2 shown]
	v_mul_hi_u32 v4, v3, v4
	s_sub_i32 s0, 0, s2
	v_writelane_b32 v126, s10, 48
	v_add_u32_e32 v65, v3, v4
	v_mul_lo_u32 v3, s0, v2
	v_writelane_b32 v126, s11, 49
	s_mul_i32 s0, s11, s6
	v_writelane_b32 v126, s0, 50
	v_mul_hi_u32 v3, v2, v3
	v_writelane_b32 v126, s16, 51
	v_add_u32_e32 v66, v2, v3
	v_writelane_b32 v126, s17, 52
	s_branch .LBB25_3
.LBB25_2:                               ;   in Loop: Header=BB25_3 Depth=1
	v_readlane_b32 s0, v126, 55
	v_readlane_b32 s1, v126, 56
	s_or_b64 exec, exec, s[0:1]
	v_readlane_b32 s16, v126, 51
	v_readlane_b32 s17, v126, 52
	v_mul_lo_u32 v2, v71, s17
	v_ashrrev_i32_e32 v3, 31, v2
	v_readlane_b32 s0, v126, 14
	v_lshlrev_b64 v[2:3], 1, v[2:3]
	v_readlane_b32 s1, v126, 15
	v_mov_b32_e32 v5, s1
	v_add_co_u32_e32 v6, vcc, s0, v2
	v_readlane_b32 s0, v126, 18
	v_mul_lo_u32 v2, s0, v70
	v_addc_co_u32_e32 v5, vcc, v5, v3, vcc
	v_ashrrev_i32_e32 v3, 31, v2
	v_readlane_b32 s1, v126, 19
	v_lshlrev_b64 v[2:3], 1, v[2:3]
	v_add_co_u32_e32 v6, vcc, v6, v2
	v_mul_lo_u32 v2, s1, v69
	v_addc_co_u32_e32 v5, vcc, v5, v3, vcc
	v_ashrrev_i32_e32 v3, 31, v2
	v_readlane_b32 s2, v126, 20
	v_lshlrev_b64 v[2:3], 1, v[2:3]
	v_add_co_u32_e32 v6, vcc, v6, v2
	;; [unrolled: 6-line block ×3, first 2 shown]
	v_mul_lo_u32 v2, s3, v67
	v_addc_co_u32_e32 v5, vcc, v5, v3, vcc
	v_ashrrev_i32_e32 v3, 31, v2
	v_lshlrev_b64 v[2:3], 1, v[2:3]
	v_add_co_u32_e32 v2, vcc, v6, v2
	v_addc_co_u32_e32 v3, vcc, v5, v3, vcc
	v_readlane_b32 s0, v126, 22
	v_cvt_f16_f32_e32 v4, v74
	v_mov_b32_e32 v5, s67
	v_add_co_u32_e32 v0, vcc, s0, v0
	v_readlane_b32 s0, v126, 5
	v_readlane_b32 s4, v126, 53
	v_addc_co_u32_e32 v1, vcc, v1, v5, vcc
	v_readlane_b32 s1, v126, 6
	v_readlane_b32 s5, v126, 54
	v_cmp_le_i64_e32 vcc, s[0:1], v[0:1]
	s_or_b64 s[4:5], vcc, s[4:5]
	global_store_short v[2:3], v4, off
	s_andn2_b64 exec, exec, s[4:5]
	s_cbranch_execz .LBB25_60
.LBB25_3:                               ; =>This Loop Header: Depth=1
                                        ;     Child Loop BB25_6 Depth 2
	buffer_load_dword v4, off, s[96:99], 0  ; 4-byte Folded Reload
	v_writelane_b32 v126, s4, 53
	v_writelane_b32 v126, s5, 54
	v_sub_u32_e32 v3, 0, v0
	v_ashrrev_i32_e32 v2, 31, v0
	v_readlane_b32 s0, v126, 27
	v_max_i32_e32 v3, v0, v3
	v_xor_b32_e32 v2, s0, v2
	v_readlane_b32 s0, v126, 28
	v_mov_b32_e32 v74, 0
	s_waitcnt vmcnt(0)
	v_mul_hi_u32 v4, v3, v4
	v_mul_lo_u32 v5, v4, s0
	v_sub_u32_e32 v3, v3, v5
	v_add_u32_e32 v5, 1, v4
	v_cmp_le_u32_e32 vcc, s0, v3
	v_cndmask_b32_e32 v4, v4, v5, vcc
	v_subrev_u32_e32 v5, s0, v3
	v_cndmask_b32_e32 v3, v3, v5, vcc
	v_add_u32_e32 v5, 1, v4
	v_cmp_le_u32_e32 vcc, s0, v3
	v_cndmask_b32_e32 v3, v4, v5, vcc
	buffer_load_dword v5, off, s[96:99], 0 offset:4 ; 4-byte Folded Reload
	v_xor_b32_e32 v3, v3, v2
	v_sub_u32_e32 v2, v3, v2
	v_mul_lo_u32 v3, v2, s16
	v_sub_u32_e32 v4, 0, v2
	v_sub_u32_e32 v67, v0, v3
	v_ashrrev_i32_e32 v3, 31, v2
	v_readlane_b32 s0, v126, 29
	v_max_i32_e32 v4, v2, v4
	v_xor_b32_e32 v3, s0, v3
	v_readlane_b32 s0, v126, 30
	s_waitcnt vmcnt(0)
	v_mul_hi_u32 v5, v4, v5
	v_mul_lo_u32 v6, v5, s0
	v_sub_u32_e32 v4, v4, v6
	v_add_u32_e32 v6, 1, v5
	v_cmp_le_u32_e32 vcc, s0, v4
	v_cndmask_b32_e32 v5, v5, v6, vcc
	v_subrev_u32_e32 v6, s0, v4
	v_cndmask_b32_e32 v4, v4, v6, vcc
	v_add_u32_e32 v6, 1, v5
	v_cmp_le_u32_e32 vcc, s0, v4
	v_cndmask_b32_e32 v4, v5, v6, vcc
	buffer_load_dword v5, off, s[96:99], 0 offset:8 ; 4-byte Folded Reload
	v_xor_b32_e32 v4, v4, v3
	v_readlane_b32 s0, v126, 1
	v_sub_u32_e32 v3, v4, v3
	v_readlane_b32 s3, v126, 4
	v_mul_lo_u32 v4, v3, s3
	v_sub_u32_e32 v68, v2, v4
	v_sub_u32_e32 v4, 0, v3
	v_ashrrev_i32_e32 v2, 31, v3
	v_readlane_b32 s0, v126, 31
	v_max_i32_e32 v4, v3, v4
	v_xor_b32_e32 v2, s0, v2
	v_readlane_b32 s0, v126, 32
	v_readlane_b32 s2, v126, 3
	;; [unrolled: 1-line block ×3, first 2 shown]
	s_waitcnt vmcnt(0)
	v_mul_hi_u32 v5, v4, v5
	v_mul_lo_u32 v6, v5, s0
	v_sub_u32_e32 v4, v4, v6
	v_add_u32_e32 v6, 1, v5
	v_cmp_le_u32_e32 vcc, s0, v4
	v_cndmask_b32_e32 v5, v5, v6, vcc
	v_subrev_u32_e32 v6, s0, v4
	v_cndmask_b32_e32 v4, v4, v6, vcc
	v_add_u32_e32 v6, 1, v5
	v_cmp_le_u32_e32 vcc, s0, v4
	v_cndmask_b32_e32 v4, v5, v6, vcc
	buffer_load_dword v5, off, s[96:99], 0 offset:12 ; 4-byte Folded Reload
	v_xor_b32_e32 v4, v4, v2
	v_sub_u32_e32 v2, v4, v2
	v_mul_lo_u32 v4, v2, s2
	v_sub_u32_e32 v69, v3, v4
	v_sub_u32_e32 v4, 0, v2
	v_max_i32_e32 v4, v2, v4
	v_readlane_b32 s0, v126, 0
	v_ashrrev_i32_e32 v3, 31, v2
	v_xor_b32_e32 v3, s66, v3
	s_waitcnt vmcnt(0)
	v_mul_hi_u32 v5, v4, v5
	v_mul_lo_u32 v6, v5, s0
	v_sub_u32_e32 v4, v4, v6
	v_add_u32_e32 v6, 1, v5
	v_cmp_le_u32_e32 vcc, s0, v4
	v_cndmask_b32_e32 v5, v5, v6, vcc
	v_subrev_u32_e32 v6, s0, v4
	v_cndmask_b32_e32 v4, v4, v6, vcc
	v_add_u32_e32 v6, 1, v5
	v_cmp_le_u32_e32 vcc, s0, v4
	v_cndmask_b32_e32 v4, v5, v6, vcc
	v_xor_b32_e32 v4, v4, v3
	v_sub_u32_e32 v71, v4, v3
	v_mul_lo_u32 v3, v71, s1
	v_sub_u32_e32 v70, v2, v3
	v_readlane_b32 s0, v126, 47
	v_mul_lo_u32 v2, v70, s0
	v_add_u32_e32 v3, s0, v2
	v_cmp_lt_i32_e32 vcc, v2, v3
	s_mov_b64 s[0:1], exec
	v_writelane_b32 v126, s0, 55
	v_writelane_b32 v126, s1, 56
	s_and_b64 s[0:1], s[0:1], vcc
	s_mov_b64 exec, s[0:1]
	s_cbranch_execz .LBB25_2
; %bb.4:                                ;   in Loop: Header=BB25_3 Depth=1
	v_readlane_b32 s0, v126, 13
	v_mul_lo_u32 v2, s0, v2
	v_ashrrev_i32_e32 v3, 31, v2
	v_readlane_b32 s0, v126, 16
	v_lshlrev_b64 v[2:3], 1, v[2:3]
	v_readlane_b32 s1, v126, 17
	v_mov_b32_e32 v4, s1
	v_add_co_u32_e32 v2, vcc, s0, v2
	v_readlane_b32 s0, v126, 48
	v_readlane_b32 s40, v126, 37
	v_mul_lo_u32 v6, s0, v71
	v_readlane_b32 s43, v126, 40
	v_readlane_b32 s1, v126, 49
	v_ashrrev_i32_e32 v7, 31, v6
	v_add_u32_e32 v10, s43, v69
	v_addc_co_u32_e32 v3, vcc, v4, v3, vcc
	v_lshlrev_b64 v[6:7], 1, v[6:7]
	v_readlane_b32 s0, v126, 7
	v_readlane_b32 s1, v126, 8
	v_add_co_u32_e32 v72, vcc, s0, v6
	v_sub_u32_e32 v6, 0, v10
	v_mov_b32_e32 v4, s1
	v_max_i32_e32 v6, v10, v6
	v_addc_co_u32_e32 v73, vcc, v4, v7, vcc
	v_mul_hi_u32 v7, v6, v64
	v_readlane_b32 s1, v126, 34
	v_mul_lo_u32 v8, v7, s1
	v_sub_u32_e32 v6, v6, v8
	v_add_u32_e32 v8, 1, v7
	v_cmp_le_u32_e32 vcc, s1, v6
	v_cndmask_b32_e32 v7, v7, v8, vcc
	v_subrev_u32_e32 v8, s1, v6
	v_cndmask_b32_e32 v6, v6, v8, vcc
	v_ashrrev_i32_e32 v4, 31, v10
	v_readlane_b32 s20, v126, 33
	v_add_u32_e32 v8, 1, v7
	v_cmp_le_u32_e32 vcc, s1, v6
	v_readlane_b32 s44, v126, 41
	v_xor_b32_e32 v4, s20, v4
	v_cndmask_b32_e32 v6, v7, v8, vcc
	v_add_u32_e32 v11, s44, v68
	v_xor_b32_e32 v6, v6, v4
	v_sub_u32_e32 v7, v6, v4
	v_sub_u32_e32 v6, 0, v11
	v_max_i32_e32 v6, v11, v6
	v_mul_hi_u32 v8, v6, v65
	v_readlane_b32 s4, v126, 36
	v_mul_lo_u32 v9, v8, s4
	v_sub_u32_e32 v6, v6, v9
	v_add_u32_e32 v9, 1, v8
	v_cmp_le_u32_e32 vcc, s4, v6
	v_cndmask_b32_e32 v8, v8, v9, vcc
	v_subrev_u32_e32 v9, s4, v6
	v_readlane_b32 s45, v126, 42
	v_cndmask_b32_e32 v6, v6, v9, vcc
	v_add_u32_e32 v5, s45, v67
	v_add_u32_e32 v9, 1, v8
	v_cmp_le_u32_e32 vcc, s4, v6
	v_cndmask_b32_e32 v6, v8, v9, vcc
	v_sub_u32_e32 v8, 0, v5
	v_max_i32_e32 v8, v5, v8
	v_mul_hi_u32 v9, v8, v66
	v_readlane_b32 s8, v126, 46
	v_mul_lo_u32 v12, v9, s8
	v_sub_u32_e32 v8, v8, v12
	v_add_u32_e32 v12, 1, v9
	v_cmp_le_u32_e32 vcc, s8, v8
	v_cndmask_b32_e32 v9, v9, v12, vcc
	v_subrev_u32_e32 v12, s8, v8
	v_cndmask_b32_e32 v8, v8, v12, vcc
	v_readlane_b32 s0, v126, 25
	v_add_u32_e32 v12, 1, v9
	v_cmp_le_u32_e32 vcc, s8, v8
	v_subrev_u32_e32 v15, s0, v11
	v_cndmask_b32_e32 v8, v9, v12, vcc
	v_sub_u32_e32 v9, 0, v15
	v_max_i32_e32 v9, v15, v9
	v_mul_hi_u32 v12, v9, v65
	v_mul_lo_u32 v13, v12, s4
	v_sub_u32_e32 v9, v9, v13
	v_add_u32_e32 v13, 1, v12
	v_cmp_le_u32_e32 vcc, s4, v9
	v_cndmask_b32_e32 v12, v12, v13, vcc
	v_subrev_u32_e32 v13, s4, v9
	v_readlane_b32 s47, v126, 44
	v_cndmask_b32_e32 v9, v9, v13, vcc
	v_ashrrev_i32_e32 v4, 31, v11
	v_readlane_b32 s5, v126, 35
	v_add_u32_e32 v13, 1, v12
	v_cmp_le_u32_e32 vcc, s4, v9
	v_subrev_u32_e32 v17, s47, v11
	v_xor_b32_e32 v4, s5, v4
	v_cndmask_b32_e32 v9, v12, v13, vcc
	v_sub_u32_e32 v12, 0, v17
	v_xor_b32_e32 v6, v6, v4
	v_max_i32_e32 v12, v17, v12
	v_sub_u32_e32 v4, v6, v4
	v_ashrrev_i32_e32 v6, 31, v5
	v_readlane_b32 s9, v126, 45
	v_mul_hi_u32 v13, v12, v65
	v_xor_b32_e32 v6, s9, v6
	v_mul_lo_u32 v14, v13, s4
	v_xor_b32_e32 v8, v8, v6
	v_sub_u32_e32 v12, v12, v14
	v_sub_u32_e32 v6, v8, v6
	v_ashrrev_i32_e32 v8, 31, v15
	v_add_u32_e32 v14, 1, v13
	v_cmp_le_u32_e32 vcc, s4, v12
	v_xor_b32_e32 v8, s5, v8
	v_cndmask_b32_e32 v13, v13, v14, vcc
	v_subrev_u32_e32 v14, s4, v12
	v_xor_b32_e32 v9, v9, v8
	v_cndmask_b32_e32 v12, v12, v14, vcc
	v_sub_u32_e32 v8, v9, v8
	v_ashrrev_i32_e32 v9, 31, v17
	v_add_u32_e32 v14, 1, v13
	v_cmp_le_u32_e32 vcc, s4, v12
	v_xor_b32_e32 v9, s5, v9
	v_cndmask_b32_e32 v12, v13, v14, vcc
	v_readlane_b32 s0, v126, 26
	v_xor_b32_e32 v12, v12, v9
	v_subrev_u32_e32 v18, s0, v10
	v_sub_u32_e32 v9, v12, v9
	v_sub_u32_e32 v12, 0, v18
	v_max_i32_e32 v12, v18, v12
	v_mul_hi_u32 v13, v12, v64
	v_mul_lo_u32 v14, v13, s1
	v_sub_u32_e32 v12, v12, v14
	v_add_u32_e32 v14, 1, v13
	v_cmp_le_u32_e32 vcc, s1, v12
	v_cndmask_b32_e32 v13, v13, v14, vcc
	v_subrev_u32_e32 v14, s1, v12
	v_readlane_b32 s46, v126, 43
	v_cndmask_b32_e32 v12, v12, v14, vcc
	v_add_u32_e32 v14, 1, v13
	v_cmp_le_u32_e32 vcc, s1, v12
	v_subrev_u32_e32 v20, s46, v10
	v_cndmask_b32_e32 v26, v13, v14, vcc
	v_sub_u32_e32 v13, 0, v20
	v_max_i32_e32 v13, v20, v13
	v_mul_hi_u32 v14, v13, v64
	v_mul_lo_u32 v19, v14, s1
	v_sub_u32_e32 v13, v13, v19
	v_add_u32_e32 v19, 1, v14
	v_cmp_le_u32_e32 vcc, s1, v13
	v_cndmask_b32_e32 v14, v14, v19, vcc
	v_subrev_u32_e32 v19, s1, v13
	v_cndmask_b32_e32 v13, v13, v19, vcc
	v_ashrrev_i32_e32 v12, 31, v20
	v_add_u32_e32 v19, 1, v14
	v_cmp_le_u32_e32 vcc, s1, v13
	v_xor_b32_e32 v12, s20, v12
	v_cndmask_b32_e32 v13, v14, v19, vcc
	s_mov_b32 s33, s66
	v_readlane_b32 s64, v126, 9
	v_or_b32_e32 v24, v6, v4
	v_xor_b32_e32 v13, v13, v12
	v_readlane_b32 s67, v126, 12
	v_sub_u32_e32 v13, v13, v12
	v_or_b32_e32 v12, v24, v7
	v_readlane_b32 s66, v126, 11
	v_cmp_lt_i32_e64 s[0:1], -1, v12
	v_cmp_gt_i32_e32 vcc, s67, v6
	v_readlane_b32 s65, v126, 10
	v_cmp_gt_i32_e64 s[2:3], s66, v4
	s_and_b64 s[0:1], vcc, s[0:1]
	v_cmp_gt_i32_e64 s[6:7], s65, v7
	s_and_b64 s[0:1], s[0:1], s[2:3]
	s_and_b64 s[0:1], s[0:1], s[6:7]
	v_readlane_b32 s41, v126, 38
	v_readlane_b32 s42, v126, 39
	v_writelane_b32 v126, s0, 57
	v_writelane_b32 v126, s1, 58
	v_readlane_b32 s0, v126, 23
	v_subrev_u32_e32 v19, s0, v5
	v_sub_u32_e32 v14, 0, v19
	v_max_i32_e32 v14, v19, v14
	v_mul_hi_u32 v21, v14, v66
	v_mul_lo_u32 v23, v21, s8
	v_sub_u32_e32 v14, v14, v23
	v_add_u32_e32 v23, 1, v21
	v_cmp_le_u32_e64 s[0:1], s8, v14
	v_cndmask_b32_e64 v21, v21, v23, s[0:1]
	v_subrev_u32_e32 v23, s8, v14
	v_cndmask_b32_e64 v14, v14, v23, s[0:1]
	v_ashrrev_i32_e32 v12, 31, v19
	v_add_u32_e32 v23, 1, v21
	v_cmp_le_u32_e64 s[0:1], s8, v14
	v_xor_b32_e32 v12, s9, v12
	v_cndmask_b32_e64 v14, v21, v23, s[0:1]
	v_xor_b32_e32 v14, v14, v12
	v_sub_u32_e32 v12, v14, v12
	v_or_b32_e32 v28, v12, v4
	v_or_b32_e32 v14, v28, v7
	v_cmp_lt_i32_e64 s[4:5], -1, v14
	v_cmp_gt_i32_e64 s[0:1], s67, v12
	s_and_b64 s[4:5], s[0:1], s[4:5]
	s_and_b64 s[4:5], s[4:5], s[2:3]
	;; [unrolled: 1-line block ×3, first 2 shown]
	v_writelane_b32 v126, s4, 59
	v_writelane_b32 v126, s5, 60
	v_readlane_b32 s4, v126, 24
	v_subrev_u32_e32 v21, s4, v5
	v_sub_u32_e32 v25, 0, v21
	v_max_i32_e32 v25, v21, v25
	v_mul_hi_u32 v31, v25, v66
	v_mul_lo_u32 v32, v31, s8
	v_sub_u32_e32 v25, v25, v32
	v_add_u32_e32 v32, 1, v31
	v_cmp_le_u32_e64 s[4:5], s8, v25
	v_cndmask_b32_e64 v31, v31, v32, s[4:5]
	v_subrev_u32_e32 v32, s8, v25
	v_cndmask_b32_e64 v25, v25, v32, s[4:5]
	v_ashrrev_i32_e32 v14, 31, v21
	v_add_u32_e32 v32, 1, v31
	v_cmp_le_u32_e64 s[4:5], s8, v25
	v_xor_b32_e32 v14, s9, v14
	v_cndmask_b32_e64 v25, v31, v32, s[4:5]
	v_xor_b32_e32 v25, v25, v14
	v_sub_u32_e32 v14, v25, v14
	v_or_b32_e32 v32, v14, v4
	v_or_b32_e32 v34, v32, v7
	v_cmp_lt_i32_e64 s[8:9], -1, v34
	v_cmp_gt_i32_e64 s[4:5], s67, v14
	s_and_b64 s[8:9], s[4:5], s[8:9]
	s_and_b64 s[8:9], s[8:9], s[2:3]
	v_or_b32_e32 v22, v6, v9
	s_and_b64 s[8:9], s[8:9], s[6:7]
	v_writelane_b32 v126, s8, 61
	v_or_b32_e32 v35, v22, v7
	v_writelane_b32 v126, s9, 62
	v_cmp_lt_i32_e64 s[8:9], -1, v35
	v_cmp_gt_i32_e64 s[10:11], s66, v9
	s_and_b64 s[8:9], vcc, s[8:9]
	s_and_b64 s[8:9], s[8:9], s[10:11]
	v_or_b32_e32 v27, v12, v9
	s_and_b64 s[8:9], s[8:9], s[6:7]
                                        ; implicit-def: $vgpr127 : SGPR spill to VGPR lane
	v_writelane_b32 v126, s8, 63
	v_or_b32_e32 v36, v27, v7
	v_writelane_b32 v127, s9, 0
	v_cmp_lt_i32_e64 s[8:9], -1, v36
	s_and_b64 s[8:9], s[0:1], s[8:9]
	s_and_b64 s[8:9], s[8:9], s[10:11]
	v_or_b32_e32 v31, v14, v9
	s_and_b64 s[8:9], s[8:9], s[6:7]
	v_writelane_b32 v127, s8, 1
	v_or_b32_e32 v37, v31, v7
	v_writelane_b32 v127, s9, 2
	v_cmp_lt_i32_e64 s[8:9], -1, v37
	s_and_b64 s[8:9], s[4:5], s[8:9]
	v_or_b32_e32 v16, v6, v8
	s_and_b64 s[8:9], s[8:9], s[10:11]
	s_and_b64 s[8:9], s[8:9], s[6:7]
	v_or_b32_e32 v38, v16, v7
	v_writelane_b32 v127, s8, 3
	v_cmp_lt_i32_e64 s[12:13], -1, v38
	v_writelane_b32 v127, s9, 4
	v_cmp_gt_i32_e64 s[8:9], s66, v8
	s_and_b64 s[12:13], vcc, s[12:13]
	s_and_b64 s[12:13], s[12:13], s[8:9]
	v_or_b32_e32 v23, v12, v8
	s_and_b64 s[12:13], s[12:13], s[6:7]
	v_writelane_b32 v127, s12, 5
	v_or_b32_e32 v39, v23, v7
	v_writelane_b32 v127, s13, 6
	v_cmp_lt_i32_e64 s[12:13], -1, v39
	s_and_b64 s[12:13], s[0:1], s[12:13]
	s_and_b64 s[12:13], s[12:13], s[8:9]
	v_or_b32_e32 v25, v14, v8
	s_and_b64 s[12:13], s[12:13], s[6:7]
	v_writelane_b32 v127, s12, 7
	v_or_b32_e32 v40, v25, v7
	v_writelane_b32 v127, s13, 8
	v_cmp_lt_i32_e64 s[12:13], -1, v40
	s_and_b64 s[12:13], s[4:5], s[12:13]
	s_and_b64 s[12:13], s[12:13], s[8:9]
	v_or_b32_e32 v29, v24, v13
	s_and_b64 s[6:7], s[12:13], s[6:7]
	v_writelane_b32 v127, s6, 9
	v_cmp_lt_i32_e64 s[12:13], -1, v29
	s_and_b64 s[14:15], vcc, s[2:3]
	v_or_b32_e32 v30, v28, v13
	v_writelane_b32 v127, s7, 10
	v_cmp_gt_i32_e64 s[6:7], s65, v13
	s_and_b64 s[12:13], s[14:15], s[12:13]
	s_and_b64 s[72:73], s[12:13], s[6:7]
	v_cmp_lt_i32_e64 s[12:13], -1, v30
	s_and_b64 s[16:17], s[0:1], s[2:3]
	v_or_b32_e32 v33, v32, v13
	s_and_b64 s[12:13], s[16:17], s[12:13]
	s_and_b64 s[74:75], s[12:13], s[6:7]
	v_cmp_lt_i32_e64 s[12:13], -1, v33
	s_and_b64 s[18:19], s[4:5], s[2:3]
	v_or_b32_e32 v34, v22, v13
	s_and_b64 s[2:3], s[18:19], s[12:13]
	s_and_b64 s[56:57], s[2:3], s[6:7]
	v_cmp_lt_i32_e64 s[2:3], -1, v34
	s_and_b64 s[2:3], vcc, s[2:3]
	v_or_b32_e32 v35, v27, v13
	s_and_b64 s[2:3], s[2:3], s[10:11]
	s_and_b64 s[58:59], s[2:3], s[6:7]
	v_cmp_lt_i32_e64 s[2:3], -1, v35
	s_and_b64 s[2:3], s[0:1], s[2:3]
	v_or_b32_e32 v36, v31, v13
	s_and_b64 s[2:3], s[2:3], s[10:11]
	s_and_b64 s[60:61], s[2:3], s[6:7]
	v_cmp_lt_i32_e64 s[2:3], -1, v36
	s_and_b64 s[2:3], s[4:5], s[2:3]
	v_or_b32_e32 v37, v16, v13
	s_and_b64 s[2:3], s[2:3], s[10:11]
	s_and_b64 s[62:63], s[2:3], s[6:7]
	v_cmp_lt_i32_e64 s[2:3], -1, v37
	s_and_b64 s[2:3], vcc, s[2:3]
	v_or_b32_e32 v38, v23, v13
	s_and_b64 s[2:3], s[2:3], s[8:9]
	s_and_b64 s[90:91], s[2:3], s[6:7]
	v_cmp_lt_i32_e64 s[2:3], -1, v38
	s_and_b64 s[2:3], s[0:1], s[2:3]
	v_ashrrev_i32_e32 v29, 31, v18
	v_or_b32_e32 v39, v25, v13
	s_and_b64 s[2:3], s[2:3], s[8:9]
	v_xor_b32_e32 v29, s20, v29
	s_and_b64 s[68:69], s[2:3], s[6:7]
	v_cmp_lt_i32_e64 s[2:3], -1, v39
	v_xor_b32_e32 v26, v26, v29
	s_and_b64 s[2:3], s[4:5], s[2:3]
	v_sub_u32_e32 v50, v26, v29
	s_and_b64 s[2:3], s[2:3], s[8:9]
	v_or_b32_e32 v24, v24, v50
	s_and_b64 s[70:71], s[2:3], s[6:7]
	v_cmp_lt_i32_e64 s[2:3], -1, v24
	v_or_b32_e32 v24, v28, v50
	s_and_b64 s[14:15], s[14:15], s[2:3]
	v_cmp_lt_i32_e64 s[2:3], -1, v24
	;; [unrolled: 3-line block ×4, first 2 shown]
	v_or_b32_e32 v24, v27, v50
	s_and_b64 s[2:3], vcc, s[2:3]
	s_and_b64 s[20:21], s[2:3], s[10:11]
	v_cmp_lt_i32_e64 s[2:3], -1, v24
	v_or_b32_e32 v26, v31, v50
	s_and_b64 s[2:3], s[0:1], s[2:3]
	s_and_b64 s[22:23], s[2:3], s[10:11]
	v_cmp_lt_i32_e64 s[2:3], -1, v26
	s_and_b64 s[2:3], s[4:5], s[2:3]
	v_mul_lo_u32 v22, v7, s40
	v_mul_lo_u32 v24, v4, s41
	;; [unrolled: 1-line block ×4, first 2 shown]
	s_and_b64 s[24:25], s[2:3], s[10:11]
	v_cmp_eq_u32_e64 s[2:3], v22, v10
	v_cmp_eq_u32_e64 s[6:7], v24, v11
	;; [unrolled: 1-line block ×4, first 2 shown]
	v_mul_lo_u32 v10, v13, s40
	s_and_b64 s[26:27], s[2:3], s[6:7]
	s_and_b64 s[28:29], s[2:3], s[10:11]
	;; [unrolled: 1-line block ×3, first 2 shown]
	v_cmp_eq_u32_e64 s[2:3], v10, v20
	v_mul_lo_u32 v10, v50, s40
	s_and_b64 s[34:35], s[2:3], s[6:7]
	s_and_b64 s[36:37], s[2:3], s[10:11]
	;; [unrolled: 1-line block ×3, first 2 shown]
	v_cmp_eq_u32_e64 s[2:3], v10, v18
	v_or_b32_e32 v10, v16, v50
	s_and_b64 s[40:41], s[2:3], s[6:7]
	s_and_b64 s[46:47], s[2:3], s[10:11]
	;; [unrolled: 1-line block ×3, first 2 shown]
	v_cmp_lt_i32_e64 s[2:3], -1, v10
	v_or_b32_e32 v10, v23, v50
	s_and_b64 s[2:3], vcc, s[2:3]
	v_cmp_lt_i32_e32 vcc, -1, v10
	v_or_b32_e32 v10, v25, v50
	s_and_b64 s[0:1], s[0:1], vcc
	v_cmp_lt_i32_e32 vcc, -1, v10
	v_mul_lo_u32 v10, v6, s42
	v_cmp_eq_u32_e64 s[48:49], v10, v5
	v_mul_lo_u32 v5, v7, s66
	v_add_u32_e32 v7, v4, v5
	v_mul_lo_u32 v7, v7, s67
	v_add_u32_e32 v10, v6, v7
	v_add_u32_e32 v16, v12, v7
	;; [unrolled: 1-line block ×5, first 2 shown]
	v_mul_lo_u32 v5, v5, s67
	v_mul_lo_u32 v7, v7, s67
	v_add_u32_e32 v26, v6, v5
	v_add_u32_e32 v28, v12, v5
	;; [unrolled: 1-line block ×3, first 2 shown]
	v_mul_lo_u32 v5, v13, s66
	v_add_u32_e32 v20, v6, v7
	v_add_u32_e32 v22, v12, v7
	v_add_u32_e32 v24, v14, v7
	v_add_u32_e32 v7, v4, v5
	v_mul_lo_u32 v7, v7, s67
	v_add_u32_e32 v32, v6, v7
	v_add_u32_e32 v34, v12, v7
	;; [unrolled: 1-line block ×5, first 2 shown]
	v_mul_lo_u32 v5, v5, s67
	v_add_u32_e32 v44, v6, v5
	v_add_u32_e32 v46, v12, v5
	;; [unrolled: 1-line block ×3, first 2 shown]
	v_mul_lo_u32 v5, v50, s66
	v_add_u32_e32 v4, v4, v5
	v_mul_lo_u32 v4, v4, s67
	s_and_b64 s[4:5], s[4:5], vcc
	v_cmp_gt_i32_e32 vcc, s65, v50
	v_add_u32_e32 v50, v6, v4
	v_add_u32_e32 v52, v12, v4
	;; [unrolled: 1-line block ×4, first 2 shown]
	v_mul_lo_u32 v4, v4, s67
	v_add_u32_e32 v56, v6, v4
	v_add_u32_e32 v58, v12, v4
	;; [unrolled: 1-line block ×4, first 2 shown]
	v_mul_lo_u32 v7, v7, s67
	v_mul_lo_u32 v4, v4, s67
	v_mul_lo_u32 v11, v12, s42
	v_mul_lo_u32 v15, v14, s42
	v_add_u32_e32 v38, v6, v7
	v_add_u32_e32 v40, v12, v7
	;; [unrolled: 1-line block ×6, first 2 shown]
	s_and_b64 s[2:3], s[2:3], s[8:9]
	s_and_b64 s[0:1], s[0:1], s[8:9]
	;; [unrolled: 1-line block ×3, first 2 shown]
	v_cmp_eq_u32_e64 s[50:51], v11, v19
	v_cmp_eq_u32_e64 s[52:53], v15, v21
	v_ashrrev_i32_e32 v11, 31, v10
	v_ashrrev_i32_e32 v17, 31, v16
	;; [unrolled: 1-line block ×18, first 2 shown]
	s_mov_b32 s66, s33
	v_ashrrev_i32_e32 v51, 31, v50
	v_ashrrev_i32_e32 v53, 31, v52
	;; [unrolled: 1-line block ×9, first 2 shown]
	v_readlane_b32 s33, v126, 50
	s_and_b64 s[88:89], s[14:15], vcc
	s_and_b64 s[82:83], s[16:17], vcc
	;; [unrolled: 1-line block ×9, first 2 shown]
	s_and_b64 vcc, s[26:27], s[48:49]
	s_and_b64 s[0:1], s[26:27], s[50:51]
	s_and_b64 s[2:3], s[26:27], s[52:53]
	;; [unrolled: 1-line block ×26, first 2 shown]
	s_mov_b32 s67, 0
	v_mul_lo_u32 v4, s33, v70
	v_mov_b32_e32 v74, 0
	v_lshlrev_b64 v[6:7], 1, v[10:11]
	v_lshlrev_b64 v[8:9], 1, v[16:17]
	;; [unrolled: 1-line block ×27, first 2 shown]
	v_readlane_b32 s33, v126, 47
	s_branch .LBB25_6
.LBB25_5:                               ;   in Loop: Header=BB25_6 Depth=2
	s_or_b64 exec, exec, s[64:65]
	s_waitcnt vmcnt(26)
	v_fma_mix_f32 v5, v5, v75, v74 op_sel_hi:[0,1,0]
	v_cndmask_b32_e32 v5, v74, v5, vcc
	s_waitcnt vmcnt(25)
	v_fma_mix_f32 v74, v80, v78, v5 op_sel_hi:[0,1,0]
	v_cndmask_b32_e64 v5, v5, v74, s[0:1]
	s_waitcnt vmcnt(24)
	v_fma_mix_f32 v74, v79, v81, v5 op_sel_hi:[0,1,0]
	v_cndmask_b32_e64 v5, v5, v74, s[2:3]
	;; [unrolled: 3-line block ×24, first 2 shown]
	v_add_co_u32_e64 v2, s[54:55], 54, v2
	s_waitcnt vmcnt(1)
	v_fma_mix_f32 v60, v62, v60, v5 op_sel_hi:[0,1,0]
	v_addc_co_u32_e64 v3, s[54:55], 0, v3, s[54:55]
	v_cndmask_b32_e64 v5, v5, v60, s[50:51]
	v_readlane_b32 s54, v126, 48
	s_waitcnt vmcnt(0)
	v_fma_mix_f32 v60, v61, v63, v5 op_sel_hi:[0,1,0]
	s_add_i32 s33, s33, -1
	v_readlane_b32 s55, v126, 49
	v_cndmask_b32_e64 v74, v5, v60, s[52:53]
	s_cmp_eq_u32 s33, 0
	v_add_u32_e32 v4, s55, v4
	s_cbranch_scc1 .LBB25_2
.LBB25_6:                               ;   Parent Loop BB25_3 Depth=1
                                        ; =>  This Inner Loop Header: Depth=2
	global_load_ushort v75, v[2:3], off
	v_ashrrev_i32_e32 v5, 31, v4
	v_lshlrev_b64 v[60:61], 1, v[4:5]
	v_add_co_u32_e64 v76, s[54:55], v72, v60
	v_addc_co_u32_e64 v77, s[54:55], v73, v61, s[54:55]
	v_mov_b32_e32 v5, 0
	s_mov_b64 s[64:65], exec
	v_readlane_b32 s54, v126, 57
	v_readlane_b32 s55, v126, 58
	s_and_b64 s[54:55], s[64:65], s[54:55]
	s_mov_b64 exec, s[54:55]
	s_cbranch_execz .LBB25_8
; %bb.7:                                ;   in Loop: Header=BB25_6 Depth=2
	v_add_co_u32_e64 v60, s[54:55], v76, v6
	v_addc_co_u32_e64 v61, s[54:55], v77, v7, s[54:55]
	global_load_ushort v5, v[60:61], off
	s_waitcnt vmcnt(0)
	v_cvt_f32_f16_e32 v5, v5
.LBB25_8:                               ;   in Loop: Header=BB25_6 Depth=2
	s_or_b64 exec, exec, s[64:65]
	global_load_ushort v78, v[2:3], off offset:2
	v_mov_b32_e32 v79, 0
	v_mov_b32_e32 v80, 0
	s_mov_b64 s[64:65], exec
	v_readlane_b32 s54, v126, 59
	v_readlane_b32 s55, v126, 60
	s_and_b64 s[54:55], s[64:65], s[54:55]
	s_mov_b64 exec, s[54:55]
	s_cbranch_execz .LBB25_10
; %bb.9:                                ;   in Loop: Header=BB25_6 Depth=2
	v_add_co_u32_e64 v60, s[54:55], v76, v8
	v_addc_co_u32_e64 v61, s[54:55], v77, v9, s[54:55]
	global_load_ushort v60, v[60:61], off
	s_waitcnt vmcnt(0)
	v_cvt_f32_f16_e32 v80, v60
.LBB25_10:                              ;   in Loop: Header=BB25_6 Depth=2
	s_or_b64 exec, exec, s[64:65]
	global_load_ushort v81, v[2:3], off offset:4
	s_mov_b64 s[64:65], exec
	v_readlane_b32 s54, v126, 61
	v_readlane_b32 s55, v126, 62
	s_and_b64 s[54:55], s[64:65], s[54:55]
	s_mov_b64 exec, s[54:55]
	s_cbranch_execz .LBB25_12
; %bb.11:                               ;   in Loop: Header=BB25_6 Depth=2
	v_add_co_u32_e64 v60, s[54:55], v76, v10
	v_addc_co_u32_e64 v61, s[54:55], v77, v11, s[54:55]
	global_load_ushort v60, v[60:61], off
	s_waitcnt vmcnt(0)
	v_cvt_f32_f16_e32 v79, v60
.LBB25_12:                              ;   in Loop: Header=BB25_6 Depth=2
	s_or_b64 exec, exec, s[64:65]
	global_load_ushort v82, v[2:3], off offset:6
	v_mov_b32_e32 v83, 0
	v_mov_b32_e32 v84, 0
	s_mov_b64 s[64:65], exec
	v_readlane_b32 s54, v126, 63
	v_readlane_b32 s55, v127, 0
	s_and_b64 s[54:55], s[64:65], s[54:55]
	s_mov_b64 exec, s[54:55]
	s_cbranch_execz .LBB25_14
; %bb.13:                               ;   in Loop: Header=BB25_6 Depth=2
	v_add_co_u32_e64 v60, s[54:55], v76, v12
	v_addc_co_u32_e64 v61, s[54:55], v77, v13, s[54:55]
	global_load_ushort v60, v[60:61], off
	s_waitcnt vmcnt(0)
	v_cvt_f32_f16_e32 v84, v60
.LBB25_14:                              ;   in Loop: Header=BB25_6 Depth=2
	s_or_b64 exec, exec, s[64:65]
	global_load_ushort v85, v[2:3], off offset:8
	s_mov_b64 s[64:65], exec
	v_readlane_b32 s54, v127, 1
	v_readlane_b32 s55, v127, 2
	s_and_b64 s[54:55], s[64:65], s[54:55]
	s_mov_b64 exec, s[54:55]
	s_cbranch_execz .LBB25_16
; %bb.15:                               ;   in Loop: Header=BB25_6 Depth=2
	v_add_co_u32_e64 v60, s[54:55], v76, v14
	v_addc_co_u32_e64 v61, s[54:55], v77, v15, s[54:55]
	global_load_ushort v60, v[60:61], off
	s_waitcnt vmcnt(0)
	v_cvt_f32_f16_e32 v83, v60
.LBB25_16:                              ;   in Loop: Header=BB25_6 Depth=2
	s_or_b64 exec, exec, s[64:65]
	global_load_ushort v86, v[2:3], off offset:10
	v_mov_b32_e32 v87, 0
	v_mov_b32_e32 v88, 0
	s_mov_b64 s[64:65], exec
	v_readlane_b32 s54, v127, 3
	v_readlane_b32 s55, v127, 4
	s_and_b64 s[54:55], s[64:65], s[54:55]
	s_mov_b64 exec, s[54:55]
	s_cbranch_execz .LBB25_18
; %bb.17:                               ;   in Loop: Header=BB25_6 Depth=2
	v_add_co_u32_e64 v60, s[54:55], v76, v16
	v_addc_co_u32_e64 v61, s[54:55], v77, v17, s[54:55]
	global_load_ushort v60, v[60:61], off
	s_waitcnt vmcnt(0)
	v_cvt_f32_f16_e32 v88, v60
.LBB25_18:                              ;   in Loop: Header=BB25_6 Depth=2
	;; [unrolled: 32-line block ×3, first 2 shown]
	s_or_b64 exec, exec, s[64:65]
	global_load_ushort v93, v[2:3], off offset:16
	s_mov_b64 s[64:65], exec
	v_readlane_b32 s54, v127, 9
	v_readlane_b32 s55, v127, 10
	s_and_b64 s[54:55], s[64:65], s[54:55]
	s_mov_b64 exec, s[54:55]
	s_cbranch_execz .LBB25_24
; %bb.23:                               ;   in Loop: Header=BB25_6 Depth=2
	v_add_co_u32_e64 v60, s[54:55], v76, v22
	v_addc_co_u32_e64 v61, s[54:55], v77, v23, s[54:55]
	global_load_ushort v60, v[60:61], off
	s_waitcnt vmcnt(0)
	v_cvt_f32_f16_e32 v91, v60
.LBB25_24:                              ;   in Loop: Header=BB25_6 Depth=2
	s_or_b64 exec, exec, s[64:65]
	global_load_ushort v94, v[2:3], off offset:18
	v_mov_b32_e32 v95, 0
	v_mov_b32_e32 v96, 0
	s_and_saveexec_b64 s[64:65], s[72:73]
	s_cbranch_execz .LBB25_26
; %bb.25:                               ;   in Loop: Header=BB25_6 Depth=2
	v_add_co_u32_e64 v60, s[54:55], v76, v24
	v_addc_co_u32_e64 v61, s[54:55], v77, v25, s[54:55]
	global_load_ushort v60, v[60:61], off
	s_waitcnt vmcnt(0)
	v_cvt_f32_f16_e32 v96, v60
.LBB25_26:                              ;   in Loop: Header=BB25_6 Depth=2
	s_or_b64 exec, exec, s[64:65]
	global_load_ushort v97, v[2:3], off offset:20
	s_and_saveexec_b64 s[64:65], s[74:75]
	s_cbranch_execz .LBB25_28
; %bb.27:                               ;   in Loop: Header=BB25_6 Depth=2
	v_add_co_u32_e64 v60, s[54:55], v76, v26
	v_addc_co_u32_e64 v61, s[54:55], v77, v27, s[54:55]
	global_load_ushort v60, v[60:61], off
	s_waitcnt vmcnt(0)
	v_cvt_f32_f16_e32 v95, v60
.LBB25_28:                              ;   in Loop: Header=BB25_6 Depth=2
	s_or_b64 exec, exec, s[64:65]
	global_load_ushort v98, v[2:3], off offset:22
	v_mov_b32_e32 v99, 0
	v_mov_b32_e32 v100, 0
	s_and_saveexec_b64 s[64:65], s[56:57]
	s_cbranch_execz .LBB25_30
; %bb.29:                               ;   in Loop: Header=BB25_6 Depth=2
	v_add_co_u32_e64 v60, s[54:55], v76, v28
	v_addc_co_u32_e64 v61, s[54:55], v77, v29, s[54:55]
	global_load_ushort v60, v[60:61], off
	s_waitcnt vmcnt(0)
	v_cvt_f32_f16_e32 v100, v60
.LBB25_30:                              ;   in Loop: Header=BB25_6 Depth=2
	s_or_b64 exec, exec, s[64:65]
	global_load_ushort v101, v[2:3], off offset:24
	s_and_saveexec_b64 s[64:65], s[58:59]
	;; [unrolled: 24-line block ×9, first 2 shown]
	s_cbranch_execz .LBB25_5
; %bb.59:                               ;   in Loop: Header=BB25_6 Depth=2
	v_add_co_u32_e64 v76, s[54:55], v76, v58
	v_addc_co_u32_e64 v77, s[54:55], v77, v59, s[54:55]
	global_load_ushort v61, v[76:77], off
	s_waitcnt vmcnt(0)
	v_cvt_f32_f16_e32 v61, v61
	s_branch .LBB25_5
.LBB25_60:
	s_endpgm
	.section	.rodata,"a",@progbits
	.p2align	6, 0x0
	.amdhsa_kernel _ZN2at6native12_GLOBAL__N_143conv_depthwise3d_cuda_backward_input_kernelIN3c104HalfEfLi3ELi3ELi3ELin1ELin1ELin1ELin1ELin1ELin1EEEvN5torch10headeronly6detail27GenericPackedTensorAccessorINS7_14TensorAccessorINS3_8ArrayRefIlEEKT_Lm4ENS6_16DefaultPtrTraitsEiEENS_6detail16IndexBoundsCheckILm5EiEESD_Lm5ESE_iEENS8_INS9_ISB_SC_Lm4ESE_iEESI_SC_Lm5ESE_iEESJ_iiiiiiiii
		.amdhsa_group_segment_fixed_size 0
		.amdhsa_private_segment_fixed_size 20
		.amdhsa_kernarg_size 440
		.amdhsa_user_sgpr_count 6
		.amdhsa_user_sgpr_private_segment_buffer 1
		.amdhsa_user_sgpr_dispatch_ptr 0
		.amdhsa_user_sgpr_queue_ptr 0
		.amdhsa_user_sgpr_kernarg_segment_ptr 1
		.amdhsa_user_sgpr_dispatch_id 0
		.amdhsa_user_sgpr_flat_scratch_init 0
		.amdhsa_user_sgpr_kernarg_preload_length 0
		.amdhsa_user_sgpr_kernarg_preload_offset 0
		.amdhsa_user_sgpr_private_segment_size 0
		.amdhsa_uses_dynamic_stack 0
		.amdhsa_system_sgpr_private_segment_wavefront_offset 1
		.amdhsa_system_sgpr_workgroup_id_x 1
		.amdhsa_system_sgpr_workgroup_id_y 0
		.amdhsa_system_sgpr_workgroup_id_z 0
		.amdhsa_system_sgpr_workgroup_info 0
		.amdhsa_system_vgpr_workitem_id 0
		.amdhsa_next_free_vgpr 128
		.amdhsa_next_free_sgpr 100
		.amdhsa_accum_offset 128
		.amdhsa_reserve_vcc 1
		.amdhsa_reserve_flat_scratch 0
		.amdhsa_float_round_mode_32 0
		.amdhsa_float_round_mode_16_64 0
		.amdhsa_float_denorm_mode_32 3
		.amdhsa_float_denorm_mode_16_64 3
		.amdhsa_dx10_clamp 1
		.amdhsa_ieee_mode 1
		.amdhsa_fp16_overflow 0
		.amdhsa_tg_split 0
		.amdhsa_exception_fp_ieee_invalid_op 0
		.amdhsa_exception_fp_denorm_src 0
		.amdhsa_exception_fp_ieee_div_zero 0
		.amdhsa_exception_fp_ieee_overflow 0
		.amdhsa_exception_fp_ieee_underflow 0
		.amdhsa_exception_fp_ieee_inexact 0
		.amdhsa_exception_int_div_zero 0
	.end_amdhsa_kernel
	.section	.text._ZN2at6native12_GLOBAL__N_143conv_depthwise3d_cuda_backward_input_kernelIN3c104HalfEfLi3ELi3ELi3ELin1ELin1ELin1ELin1ELin1ELin1EEEvN5torch10headeronly6detail27GenericPackedTensorAccessorINS7_14TensorAccessorINS3_8ArrayRefIlEEKT_Lm4ENS6_16DefaultPtrTraitsEiEENS_6detail16IndexBoundsCheckILm5EiEESD_Lm5ESE_iEENS8_INS9_ISB_SC_Lm4ESE_iEESI_SC_Lm5ESE_iEESJ_iiiiiiiii,"axG",@progbits,_ZN2at6native12_GLOBAL__N_143conv_depthwise3d_cuda_backward_input_kernelIN3c104HalfEfLi3ELi3ELi3ELin1ELin1ELin1ELin1ELin1ELin1EEEvN5torch10headeronly6detail27GenericPackedTensorAccessorINS7_14TensorAccessorINS3_8ArrayRefIlEEKT_Lm4ENS6_16DefaultPtrTraitsEiEENS_6detail16IndexBoundsCheckILm5EiEESD_Lm5ESE_iEENS8_INS9_ISB_SC_Lm4ESE_iEESI_SC_Lm5ESE_iEESJ_iiiiiiiii,comdat
.Lfunc_end25:
	.size	_ZN2at6native12_GLOBAL__N_143conv_depthwise3d_cuda_backward_input_kernelIN3c104HalfEfLi3ELi3ELi3ELin1ELin1ELin1ELin1ELin1ELin1EEEvN5torch10headeronly6detail27GenericPackedTensorAccessorINS7_14TensorAccessorINS3_8ArrayRefIlEEKT_Lm4ENS6_16DefaultPtrTraitsEiEENS_6detail16IndexBoundsCheckILm5EiEESD_Lm5ESE_iEENS8_INS9_ISB_SC_Lm4ESE_iEESI_SC_Lm5ESE_iEESJ_iiiiiiiii, .Lfunc_end25-_ZN2at6native12_GLOBAL__N_143conv_depthwise3d_cuda_backward_input_kernelIN3c104HalfEfLi3ELi3ELi3ELin1ELin1ELin1ELin1ELin1ELin1EEEvN5torch10headeronly6detail27GenericPackedTensorAccessorINS7_14TensorAccessorINS3_8ArrayRefIlEEKT_Lm4ENS6_16DefaultPtrTraitsEiEENS_6detail16IndexBoundsCheckILm5EiEESD_Lm5ESE_iEENS8_INS9_ISB_SC_Lm4ESE_iEESI_SC_Lm5ESE_iEESJ_iiiiiiiii
                                        ; -- End function
	.section	.AMDGPU.csdata,"",@progbits
; Kernel info:
; codeLenInByte = 7188
; NumSgprs: 104
; NumVgprs: 128
; NumAgprs: 0
; TotalNumVgprs: 128
; ScratchSize: 20
; MemoryBound: 0
; FloatMode: 240
; IeeeMode: 1
; LDSByteSize: 0 bytes/workgroup (compile time only)
; SGPRBlocks: 12
; VGPRBlocks: 15
; NumSGPRsForWavesPerEU: 104
; NumVGPRsForWavesPerEU: 128
; AccumOffset: 128
; Occupancy: 4
; WaveLimiterHint : 0
; COMPUTE_PGM_RSRC2:SCRATCH_EN: 1
; COMPUTE_PGM_RSRC2:USER_SGPR: 6
; COMPUTE_PGM_RSRC2:TRAP_HANDLER: 0
; COMPUTE_PGM_RSRC2:TGID_X_EN: 1
; COMPUTE_PGM_RSRC2:TGID_Y_EN: 0
; COMPUTE_PGM_RSRC2:TGID_Z_EN: 0
; COMPUTE_PGM_RSRC2:TIDIG_COMP_CNT: 0
; COMPUTE_PGM_RSRC3_GFX90A:ACCUM_OFFSET: 31
; COMPUTE_PGM_RSRC3_GFX90A:TG_SPLIT: 0
	.section	.text._ZN2at6native12_GLOBAL__N_143conv_depthwise3d_cuda_backward_input_kernelIN3c104HalfEfLin1ELin1ELin1ELin1ELin1ELin1ELin1ELin1ELin1EEEvN5torch10headeronly6detail27GenericPackedTensorAccessorINS7_14TensorAccessorINS3_8ArrayRefIlEEKT_Lm4ENS6_16DefaultPtrTraitsEiEENS_6detail16IndexBoundsCheckILm5EiEESD_Lm5ESE_iEENS8_INS9_ISB_SC_Lm4ESE_iEESI_SC_Lm5ESE_iEESJ_iiiiiiiii,"axG",@progbits,_ZN2at6native12_GLOBAL__N_143conv_depthwise3d_cuda_backward_input_kernelIN3c104HalfEfLin1ELin1ELin1ELin1ELin1ELin1ELin1ELin1ELin1EEEvN5torch10headeronly6detail27GenericPackedTensorAccessorINS7_14TensorAccessorINS3_8ArrayRefIlEEKT_Lm4ENS6_16DefaultPtrTraitsEiEENS_6detail16IndexBoundsCheckILm5EiEESD_Lm5ESE_iEENS8_INS9_ISB_SC_Lm4ESE_iEESI_SC_Lm5ESE_iEESJ_iiiiiiiii,comdat
	.globl	_ZN2at6native12_GLOBAL__N_143conv_depthwise3d_cuda_backward_input_kernelIN3c104HalfEfLin1ELin1ELin1ELin1ELin1ELin1ELin1ELin1ELin1EEEvN5torch10headeronly6detail27GenericPackedTensorAccessorINS7_14TensorAccessorINS3_8ArrayRefIlEEKT_Lm4ENS6_16DefaultPtrTraitsEiEENS_6detail16IndexBoundsCheckILm5EiEESD_Lm5ESE_iEENS8_INS9_ISB_SC_Lm4ESE_iEESI_SC_Lm5ESE_iEESJ_iiiiiiiii ; -- Begin function _ZN2at6native12_GLOBAL__N_143conv_depthwise3d_cuda_backward_input_kernelIN3c104HalfEfLin1ELin1ELin1ELin1ELin1ELin1ELin1ELin1ELin1EEEvN5torch10headeronly6detail27GenericPackedTensorAccessorINS7_14TensorAccessorINS3_8ArrayRefIlEEKT_Lm4ENS6_16DefaultPtrTraitsEiEENS_6detail16IndexBoundsCheckILm5EiEESD_Lm5ESE_iEENS8_INS9_ISB_SC_Lm4ESE_iEESI_SC_Lm5ESE_iEESJ_iiiiiiiii
	.p2align	8
	.type	_ZN2at6native12_GLOBAL__N_143conv_depthwise3d_cuda_backward_input_kernelIN3c104HalfEfLin1ELin1ELin1ELin1ELin1ELin1ELin1ELin1ELin1EEEvN5torch10headeronly6detail27GenericPackedTensorAccessorINS7_14TensorAccessorINS3_8ArrayRefIlEEKT_Lm4ENS6_16DefaultPtrTraitsEiEENS_6detail16IndexBoundsCheckILm5EiEESD_Lm5ESE_iEENS8_INS9_ISB_SC_Lm4ESE_iEESI_SC_Lm5ESE_iEESJ_iiiiiiiii,@function
_ZN2at6native12_GLOBAL__N_143conv_depthwise3d_cuda_backward_input_kernelIN3c104HalfEfLin1ELin1ELin1ELin1ELin1ELin1ELin1ELin1ELin1EEEvN5torch10headeronly6detail27GenericPackedTensorAccessorINS7_14TensorAccessorINS3_8ArrayRefIlEEKT_Lm4ENS6_16DefaultPtrTraitsEiEENS_6detail16IndexBoundsCheckILm5EiEESD_Lm5ESE_iEENS8_INS9_ISB_SC_Lm4ESE_iEESI_SC_Lm5ESE_iEESJ_iiiiiiiii: ; @_ZN2at6native12_GLOBAL__N_143conv_depthwise3d_cuda_backward_input_kernelIN3c104HalfEfLin1ELin1ELin1ELin1ELin1ELin1ELin1ELin1ELin1EEEvN5torch10headeronly6detail27GenericPackedTensorAccessorINS7_14TensorAccessorINS3_8ArrayRefIlEEKT_Lm4ENS6_16DefaultPtrTraitsEiEENS_6detail16IndexBoundsCheckILm5EiEESD_Lm5ESE_iEENS8_INS9_ISB_SC_Lm4ESE_iEESI_SC_Lm5ESE_iEESJ_iiiiiiiii
; %bb.0:
	s_load_dwordx4 s[20:23], s[4:5], 0x38
	s_load_dwordx2 s[10:11], s[4:5], 0x48
	s_load_dword s2, s[4:5], 0xc4
	v_mov_b32_e32 v1, 0
	v_mov_b32_e32 v3, s6
	s_waitcnt lgkmcnt(0)
	s_abs_i32 s33, s21
	v_cvt_f32_u32_e32 v2, s33
	s_add_u32 s0, s4, 0xb8
	s_mul_i32 s34, s11, s20
	s_addc_u32 s1, s5, 0
	v_rcp_iflag_f32_e32 v2, v2
	s_and_b32 s2, s2, 0xffff
	s_ashr_i32 s35, s34, 31
	v_mad_u64_u32 v[0:1], s[6:7], s2, v3, v[0:1]
	v_mul_f32_e32 v2, 0x4f7ffffe, v2
	v_cvt_u32_f32_e32 v2, v2
	v_cmp_gt_i64_e32 vcc, s[34:35], v[0:1]
	v_readfirstlane_b32 s3, v2
	s_and_saveexec_b64 s[6:7], vcc
	s_cbranch_execz .LBB26_18
; %bb.1:
	s_load_dwordx4 s[24:27], s[4:5], 0xc
	s_load_dwordx2 s[40:41], s[4:5], 0x0
	s_sub_i32 s8, 0, s33
	s_mul_i32 s9, s8, s3
	s_mul_hi_u32 s9, s3, s9
	s_waitcnt lgkmcnt(0)
	s_abs_i32 s7, s24
	s_add_i32 s3, s3, s9
	s_mul_hi_u32 s3, s7, s3
	s_mul_i32 s9, s3, s33
	s_ashr_i32 s20, s21, 31
	s_ashr_i32 s6, s24, 31
	s_sub_i32 s7, s7, s9
	s_xor_b32 s6, s6, s20
	s_add_i32 s9, s3, 1
	s_sub_i32 s28, s7, s33
	s_cmp_ge_u32 s7, s33
	s_cselect_b32 s3, s9, s3
	s_cselect_b32 s7, s28, s7
	s_add_i32 s9, s3, 1
	s_load_dwordx4 s[28:31], s[4:5], 0x70
	s_load_dword s65, s[4:5], 0x7c
	s_cmp_ge_u32 s7, s33
	s_cselect_b32 s3, s9, s3
	s_xor_b32 s3, s3, s6
	s_waitcnt lgkmcnt(0)
	s_sub_i32 s31, s3, s6
	s_cmp_gt_i32 s28, 0
	s_cselect_b64 s[42:43], -1, 0
	s_cmp_gt_i32 s29, 0
	s_cselect_b64 s[44:45], -1, 0
	;; [unrolled: 2-line block ×3, first 2 shown]
	s_abs_i32 s66, s10
	v_cvt_f32_u32_e32 v3, s66
	s_abs_i32 s69, s23
	v_cvt_f32_u32_e32 v4, s69
	s_load_dwordx8 s[12:19], s[4:5], 0x90
	s_load_dword s24, s[4:5], 0xb0
	v_rcp_iflag_f32_e32 v3, v3
	s_load_dword s3, s[0:1], 0x0
	s_load_dwordx2 s[48:49], s[4:5], 0x1c
	s_load_dwordx2 s[50:51], s[4:5], 0x30
	s_sub_i32 s0, 0, s66
	s_abs_i32 s70, s22
	v_mul_f32_e32 v3, 0x4f7ffffe, v3
	v_cvt_u32_f32_e32 v3, v3
	v_rcp_iflag_f32_e32 v6, v4
	s_waitcnt lgkmcnt(0)
	s_abs_i32 s73, s12
	v_cvt_f32_u32_e32 v7, s73
	v_mul_lo_u32 v5, s0, v3
	v_mul_hi_u32 v5, v3, v5
	v_add_u32_e32 v4, v3, v5
	v_cvt_f32_u32_e32 v3, s70
	v_mul_f32_e32 v5, 0x4f7ffffe, v6
	v_cvt_u32_f32_e32 v5, v5
	s_sub_i32 s0, 0, s69
	v_rcp_iflag_f32_e32 v3, v3
	v_rcp_iflag_f32_e32 v8, v7
	v_mul_lo_u32 v6, s0, v5
	v_mul_hi_u32 v6, v5, v6
	v_mul_f32_e32 v3, 0x4f7ffffe, v3
	v_cvt_u32_f32_e32 v3, v3
	s_sub_i32 s0, 0, s70
	v_add_u32_e32 v5, v5, v6
	s_abs_i32 s75, s13
	v_mul_lo_u32 v6, s0, v3
	v_mul_hi_u32 v6, v3, v6
	v_add_u32_e32 v6, v3, v6
	v_mul_lo_u32 v3, s8, v2
	v_mul_hi_u32 v3, v2, v3
	v_add_u32_e32 v7, v2, v3
	v_mul_f32_e32 v2, 0x4f7ffffe, v8
	v_cvt_u32_f32_e32 v2, v2
	s_sub_i32 s0, 0, s73
	v_cvt_f32_u32_e32 v3, s75
	s_abs_i32 s76, s14
	v_mul_lo_u32 v8, s0, v2
	v_mul_hi_u32 v8, v2, v8
	v_add_u32_e32 v8, v2, v8
	v_cvt_f32_u32_e32 v2, s76
	v_rcp_iflag_f32_e32 v3, v3
	s_sub_i32 s0, 0, s75
	s_load_dwordx2 s[52:53], s[4:5], 0x60
	s_load_dwordx4 s[36:39], s[4:5], 0x50
	v_rcp_iflag_f32_e32 v2, v2
	v_mul_f32_e32 v3, 0x4f7ffffe, v3
	v_cvt_u32_f32_e32 v3, v3
	s_mov_b32 s64, 0
	v_mul_f32_e32 v2, 0x4f7ffffe, v2
	v_cvt_u32_f32_e32 v2, v2
	v_mul_lo_u32 v9, s0, v3
	v_mul_hi_u32 v9, v3, v9
	s_sub_i32 s0, 0, s76
	v_add_u32_e32 v9, v3, v9
	v_mul_lo_u32 v3, s0, v2
	v_mul_hi_u32 v3, v2, v3
	s_mul_i32 s67, s3, s2
	s_ashr_i32 s68, s10, 31
	s_ashr_i32 s71, s23, 31
	;; [unrolled: 1-line block ×6, first 2 shown]
	v_add_u32_e32 v10, v2, v3
	s_mov_b64 s[54:55], 0
	s_branch .LBB26_4
.LBB26_2:                               ;   in Loop: Header=BB26_4 Depth=1
	s_or_b64 exec, exec, s[58:59]
.LBB26_3:                               ;   in Loop: Header=BB26_4 Depth=1
	s_or_b64 exec, exec, s[56:57]
	v_mul_lo_u32 v2, v15, s11
	v_ashrrev_i32_e32 v3, 31, v2
	v_lshlrev_b64 v[2:3], 1, v[2:3]
	v_mov_b32_e32 v15, s51
	v_add_co_u32_e32 v17, vcc, s50, v2
	s_waitcnt lgkmcnt(0)
	v_mul_lo_u32 v2, s36, v14
	v_addc_co_u32_e32 v15, vcc, v15, v3, vcc
	v_ashrrev_i32_e32 v3, 31, v2
	v_lshlrev_b64 v[2:3], 1, v[2:3]
	v_add_co_u32_e32 v14, vcc, v17, v2
	v_mul_lo_u32 v2, s37, v13
	v_addc_co_u32_e32 v15, vcc, v15, v3, vcc
	v_ashrrev_i32_e32 v3, 31, v2
	v_lshlrev_b64 v[2:3], 1, v[2:3]
	v_add_co_u32_e32 v13, vcc, v14, v2
	;; [unrolled: 5-line block ×4, first 2 shown]
	v_addc_co_u32_e32 v3, vcc, v13, v3, vcc
	v_cvt_f16_f32_e32 v16, v21
	v_mov_b32_e32 v11, s64
	v_add_co_u32_e32 v0, vcc, s67, v0
	v_addc_co_u32_e32 v1, vcc, v1, v11, vcc
	v_cmp_le_i64_e32 vcc, s[34:35], v[0:1]
	s_or_b64 s[54:55], vcc, s[54:55]
	global_store_short v[2:3], v16, off
	s_andn2_b64 exec, exec, s[54:55]
	s_cbranch_execz .LBB26_18
.LBB26_4:                               ; =>This Loop Header: Depth=1
                                        ;     Child Loop BB26_7 Depth 2
                                        ;       Child Loop BB26_10 Depth 3
                                        ;         Child Loop BB26_13 Depth 4
                                        ;           Child Loop BB26_16 Depth 5
	v_sub_u32_e32 v3, 0, v0
	v_max_i32_e32 v3, v0, v3
	v_mul_hi_u32 v11, v3, v4
	v_mul_lo_u32 v12, v11, s66
	v_sub_u32_e32 v3, v3, v12
	v_add_u32_e32 v12, 1, v11
	v_cmp_le_u32_e32 vcc, s66, v3
	v_cndmask_b32_e32 v11, v11, v12, vcc
	v_subrev_u32_e32 v12, s66, v3
	v_cndmask_b32_e32 v3, v3, v12, vcc
	v_ashrrev_i32_e32 v2, 31, v0
	v_add_u32_e32 v12, 1, v11
	v_cmp_le_u32_e32 vcc, s66, v3
	v_xor_b32_e32 v2, s68, v2
	v_cndmask_b32_e32 v3, v11, v12, vcc
	v_xor_b32_e32 v3, v3, v2
	v_sub_u32_e32 v2, v3, v2
	v_sub_u32_e32 v12, 0, v2
	v_max_i32_e32 v12, v2, v12
	v_mul_hi_u32 v13, v12, v5
	v_mul_lo_u32 v14, v13, s69
	v_sub_u32_e32 v12, v12, v14
	v_add_u32_e32 v14, 1, v13
	v_cmp_le_u32_e32 vcc, s69, v12
	v_cndmask_b32_e32 v13, v13, v14, vcc
	v_subrev_u32_e32 v14, s69, v12
	v_mul_lo_u32 v3, v2, s10
	v_cndmask_b32_e32 v12, v12, v14, vcc
	v_sub_u32_e32 v11, v0, v3
	v_ashrrev_i32_e32 v3, 31, v2
	v_add_u32_e32 v14, 1, v13
	v_cmp_le_u32_e32 vcc, s69, v12
	v_xor_b32_e32 v3, s71, v3
	v_cndmask_b32_e32 v12, v13, v14, vcc
	v_xor_b32_e32 v12, v12, v3
	v_sub_u32_e32 v3, v12, v3
	v_sub_u32_e32 v13, 0, v3
	v_max_i32_e32 v13, v3, v13
	v_mul_hi_u32 v14, v13, v6
	v_mul_lo_u32 v15, v14, s70
	v_sub_u32_e32 v13, v13, v15
	v_add_u32_e32 v15, 1, v14
	v_cmp_le_u32_e32 vcc, s70, v13
	v_cndmask_b32_e32 v14, v14, v15, vcc
	v_subrev_u32_e32 v15, s70, v13
	v_mul_lo_u32 v12, v3, s23
	v_cndmask_b32_e32 v13, v13, v15, vcc
	v_sub_u32_e32 v12, v2, v12
	;; [unrolled: 19-line block ×3, first 2 shown]
	v_ashrrev_i32_e32 v3, 31, v2
	v_add_u32_e32 v16, 1, v15
	v_cmp_le_u32_e32 vcc, s33, v14
	v_xor_b32_e32 v3, s20, v3
	v_cndmask_b32_e32 v14, v15, v16, vcc
	v_xor_b32_e32 v14, v14, v3
	v_sub_u32_e32 v15, v14, v3
	v_mul_lo_u32 v3, v15, s21
	v_sub_u32_e32 v14, v2, v3
	v_mul_lo_u32 v16, v14, s31
	v_add_u32_e32 v17, s31, v16
	v_cmp_lt_i32_e32 vcc, v16, v17
	v_mov_b32_e32 v21, 0
	s_and_saveexec_b64 s[56:57], vcc
	s_cbranch_execz .LBB26_3
; %bb.5:                                ;   in Loop: Header=BB26_4 Depth=1
	v_mul_lo_u32 v2, s65, v16
	v_ashrrev_i32_e32 v3, 31, v2
	v_lshlrev_b64 v[2:3], 1, v[2:3]
	v_mul_lo_u32 v22, s48, v15
	s_waitcnt lgkmcnt(0)
	v_mov_b32_e32 v21, s53
	v_add_co_u32_e32 v2, vcc, s52, v2
	v_ashrrev_i32_e32 v23, 31, v22
	v_addc_co_u32_e32 v3, vcc, v21, v3, vcc
	v_lshlrev_b64 v[22:23], 1, v[22:23]
	v_mov_b32_e32 v21, s41
	v_add_co_u32_e32 v22, vcc, s40, v22
	v_add_u32_e32 v18, s17, v11
	v_add_u32_e32 v19, s16, v12
	;; [unrolled: 1-line block ×3, first 2 shown]
	v_addc_co_u32_e32 v23, vcc, v21, v23, vcc
	s_mov_b64 s[58:59], 0
	v_mov_b32_e32 v21, 0
	s_branch .LBB26_7
.LBB26_6:                               ;   in Loop: Header=BB26_7 Depth=2
	v_add_u32_e32 v16, 1, v16
	v_cmp_eq_u32_e32 vcc, v16, v17
	s_or_b64 s[58:59], vcc, s[58:59]
	s_andn2_b64 exec, exec, s[58:59]
	s_cbranch_execz .LBB26_2
.LBB26_7:                               ;   Parent Loop BB26_4 Depth=1
                                        ; =>  This Loop Header: Depth=2
                                        ;       Child Loop BB26_10 Depth 3
                                        ;         Child Loop BB26_13 Depth 4
                                        ;           Child Loop BB26_16 Depth 5
	s_andn2_b64 vcc, exec, s[42:43]
	s_cbranch_vccnz .LBB26_6
; %bb.8:                                ;   in Loop: Header=BB26_7 Depth=2
	v_mul_lo_u32 v24, s49, v16
	v_ashrrev_i32_e32 v25, 31, v24
	v_lshlrev_b64 v[24:25], 1, v[24:25]
	v_add_co_u32_e32 v24, vcc, v22, v24
	v_addc_co_u32_e32 v25, vcc, v23, v25, vcc
	s_mov_b32 s79, 0
	s_branch .LBB26_10
.LBB26_9:                               ;   in Loop: Header=BB26_10 Depth=3
	s_add_i32 s79, s79, 1
	s_cmp_eq_u32 s79, s28
	s_cbranch_scc1 .LBB26_6
.LBB26_10:                              ;   Parent Loop BB26_4 Depth=1
                                        ;     Parent Loop BB26_7 Depth=2
                                        ; =>    This Loop Header: Depth=3
                                        ;         Child Loop BB26_13 Depth 4
                                        ;           Child Loop BB26_16 Depth 5
	s_andn2_b64 vcc, exec, s[44:45]
	s_cbranch_vccnz .LBB26_9
; %bb.11:                               ;   in Loop: Header=BB26_10 Depth=3
	s_mul_i32 s0, s79, s18
	v_subrev_u32_e32 v27, s0, v20
	v_sub_u32_e32 v28, 0, v27
	v_max_i32_e32 v28, v27, v28
	v_mul_hi_u32 v29, v28, v8
	v_mul_lo_u32 v30, v29, s73
	v_sub_u32_e32 v28, v28, v30
	v_add_u32_e32 v30, 1, v29
	v_cmp_le_u32_e32 vcc, s73, v28
	v_cndmask_b32_e32 v29, v29, v30, vcc
	v_subrev_u32_e32 v30, s73, v28
	v_cndmask_b32_e32 v28, v28, v30, vcc
	v_ashrrev_i32_e32 v26, 31, v27
	v_add_u32_e32 v30, 1, v29
	v_cmp_le_u32_e32 vcc, s73, v28
	v_xor_b32_e32 v26, s74, v26
	v_cndmask_b32_e32 v28, v29, v30, vcc
	v_xor_b32_e32 v28, v28, v26
	v_sub_u32_e32 v28, v28, v26
	v_cmp_lt_i32_e64 s[0:1], -1, v28
	v_cmp_gt_i32_e64 s[2:3], s25, v28
	v_mul_lo_u32 v26, v28, s26
	v_mul_lo_u32 v28, v28, s12
	s_mov_b32 s80, 0
	v_cmp_eq_u32_e64 s[4:5], v28, v27
	s_branch .LBB26_13
.LBB26_12:                              ;   in Loop: Header=BB26_13 Depth=4
	s_add_i32 s80, s80, 1
	s_cmp_eq_u32 s80, s29
	s_cbranch_scc1 .LBB26_9
.LBB26_13:                              ;   Parent Loop BB26_4 Depth=1
                                        ;     Parent Loop BB26_7 Depth=2
                                        ;       Parent Loop BB26_10 Depth=3
                                        ; =>      This Loop Header: Depth=4
                                        ;           Child Loop BB26_16 Depth 5
	s_andn2_b64 vcc, exec, s[46:47]
	s_cbranch_vccnz .LBB26_12
; %bb.14:                               ;   in Loop: Header=BB26_13 Depth=4
	s_mul_i32 s6, s80, s19
	v_subrev_u32_e32 v28, s6, v19
	v_sub_u32_e32 v29, 0, v28
	v_max_i32_e32 v29, v28, v29
	v_mul_hi_u32 v30, v29, v9
	v_mul_lo_u32 v31, v30, s75
	v_sub_u32_e32 v29, v29, v31
	v_add_u32_e32 v31, 1, v30
	v_cmp_le_u32_e32 vcc, s75, v29
	v_cndmask_b32_e32 v30, v30, v31, vcc
	v_subrev_u32_e32 v31, s75, v29
	v_cndmask_b32_e32 v29, v29, v31, vcc
	v_ashrrev_i32_e32 v27, 31, v28
	v_add_u32_e32 v31, 1, v30
	v_cmp_le_u32_e32 vcc, s75, v29
	v_xor_b32_e32 v27, s77, v27
	v_cndmask_b32_e32 v29, v30, v31, vcc
	v_xor_b32_e32 v29, v29, v27
	v_sub_u32_e32 v29, v29, v27
	v_cmp_lt_i32_e32 vcc, -1, v29
	v_cmp_gt_i32_e64 s[6:7], s26, v29
	v_add_u32_e32 v27, v29, v26
	v_mul_lo_u32 v29, v29, s13
	v_cmp_eq_u32_e64 s[8:9], v29, v28
	v_mul_lo_u32 v27, v27, s27
	s_and_b64 s[60:61], s[4:5], s[8:9]
	s_mov_b32 s81, s30
	v_mov_b32_e32 v28, v18
	s_branch .LBB26_16
.LBB26_15:                              ;   in Loop: Header=BB26_16 Depth=5
	s_or_b64 exec, exec, s[62:63]
	v_add_co_u32_e64 v2, s[8:9], 2, v2
	v_addc_co_u32_e64 v3, s[8:9], 0, v3, s[8:9]
	v_mul_lo_u32 v30, v30, s14
	v_cmp_eq_u32_e64 s[8:9], v28, v30
	s_waitcnt vmcnt(0)
	v_fma_mix_f32 v29, v31, v29, v21 op_sel_hi:[0,1,0]
	s_and_b64 s[8:9], s[60:61], s[8:9]
	s_add_i32 s81, s81, -1
	v_cndmask_b32_e64 v21, v21, v29, s[8:9]
	s_cmp_eq_u32 s81, 0
	v_subrev_u32_e32 v28, s24, v28
	s_cbranch_scc1 .LBB26_12
.LBB26_16:                              ;   Parent Loop BB26_4 Depth=1
                                        ;     Parent Loop BB26_7 Depth=2
                                        ;       Parent Loop BB26_10 Depth=3
                                        ;         Parent Loop BB26_13 Depth=4
                                        ; =>        This Inner Loop Header: Depth=5
	global_load_ushort v29, v[2:3], off
	v_sub_u32_e32 v31, 0, v28
	v_max_i32_e32 v31, v28, v31
	v_mul_hi_u32 v32, v31, v10
	v_mul_lo_u32 v33, v32, s76
	v_sub_u32_e32 v31, v31, v33
	v_add_u32_e32 v33, 1, v32
	v_cmp_le_u32_e64 s[8:9], s76, v31
	v_cndmask_b32_e64 v32, v32, v33, s[8:9]
	v_subrev_u32_e32 v33, s76, v31
	v_cndmask_b32_e64 v31, v31, v33, s[8:9]
	v_ashrrev_i32_e32 v30, 31, v28
	v_add_u32_e32 v33, 1, v32
	v_cmp_le_u32_e64 s[8:9], s76, v31
	v_xor_b32_e32 v30, s78, v30
	v_cndmask_b32_e64 v31, v32, v33, s[8:9]
	v_xor_b32_e32 v31, v31, v30
	v_sub_u32_e32 v30, v31, v30
	v_cmp_lt_i32_e64 s[8:9], -1, v30
	s_and_b64 s[8:9], s[8:9], vcc
	s_and_b64 s[62:63], s[8:9], s[0:1]
	v_cmp_gt_i32_e64 s[8:9], s27, v30
	s_and_b64 s[8:9], s[8:9], s[62:63]
	s_and_b64 s[8:9], s[8:9], s[6:7]
	;; [unrolled: 1-line block ×3, first 2 shown]
	v_mov_b32_e32 v31, 0
	s_and_saveexec_b64 s[62:63], s[8:9]
	s_cbranch_execz .LBB26_15
; %bb.17:                               ;   in Loop: Header=BB26_16 Depth=5
	v_add_u32_e32 v32, v30, v27
	v_ashrrev_i32_e32 v33, 31, v32
	v_lshlrev_b64 v[32:33], 1, v[32:33]
	v_add_co_u32_e64 v32, s[8:9], v24, v32
	v_addc_co_u32_e64 v33, s[8:9], v25, v33, s[8:9]
	global_load_ushort v31, v[32:33], off
	s_waitcnt vmcnt(0)
	v_cvt_f32_f16_e32 v31, v31
	s_branch .LBB26_15
.LBB26_18:
	s_endpgm
	.section	.rodata,"a",@progbits
	.p2align	6, 0x0
	.amdhsa_kernel _ZN2at6native12_GLOBAL__N_143conv_depthwise3d_cuda_backward_input_kernelIN3c104HalfEfLin1ELin1ELin1ELin1ELin1ELin1ELin1ELin1ELin1EEEvN5torch10headeronly6detail27GenericPackedTensorAccessorINS7_14TensorAccessorINS3_8ArrayRefIlEEKT_Lm4ENS6_16DefaultPtrTraitsEiEENS_6detail16IndexBoundsCheckILm5EiEESD_Lm5ESE_iEENS8_INS9_ISB_SC_Lm4ESE_iEESI_SC_Lm5ESE_iEESJ_iiiiiiiii
		.amdhsa_group_segment_fixed_size 0
		.amdhsa_private_segment_fixed_size 0
		.amdhsa_kernarg_size 440
		.amdhsa_user_sgpr_count 6
		.amdhsa_user_sgpr_private_segment_buffer 1
		.amdhsa_user_sgpr_dispatch_ptr 0
		.amdhsa_user_sgpr_queue_ptr 0
		.amdhsa_user_sgpr_kernarg_segment_ptr 1
		.amdhsa_user_sgpr_dispatch_id 0
		.amdhsa_user_sgpr_flat_scratch_init 0
		.amdhsa_user_sgpr_kernarg_preload_length 0
		.amdhsa_user_sgpr_kernarg_preload_offset 0
		.amdhsa_user_sgpr_private_segment_size 0
		.amdhsa_uses_dynamic_stack 0
		.amdhsa_system_sgpr_private_segment_wavefront_offset 0
		.amdhsa_system_sgpr_workgroup_id_x 1
		.amdhsa_system_sgpr_workgroup_id_y 0
		.amdhsa_system_sgpr_workgroup_id_z 0
		.amdhsa_system_sgpr_workgroup_info 0
		.amdhsa_system_vgpr_workitem_id 0
		.amdhsa_next_free_vgpr 34
		.amdhsa_next_free_sgpr 82
		.amdhsa_accum_offset 36
		.amdhsa_reserve_vcc 1
		.amdhsa_reserve_flat_scratch 0
		.amdhsa_float_round_mode_32 0
		.amdhsa_float_round_mode_16_64 0
		.amdhsa_float_denorm_mode_32 3
		.amdhsa_float_denorm_mode_16_64 3
		.amdhsa_dx10_clamp 1
		.amdhsa_ieee_mode 1
		.amdhsa_fp16_overflow 0
		.amdhsa_tg_split 0
		.amdhsa_exception_fp_ieee_invalid_op 0
		.amdhsa_exception_fp_denorm_src 0
		.amdhsa_exception_fp_ieee_div_zero 0
		.amdhsa_exception_fp_ieee_overflow 0
		.amdhsa_exception_fp_ieee_underflow 0
		.amdhsa_exception_fp_ieee_inexact 0
		.amdhsa_exception_int_div_zero 0
	.end_amdhsa_kernel
	.section	.text._ZN2at6native12_GLOBAL__N_143conv_depthwise3d_cuda_backward_input_kernelIN3c104HalfEfLin1ELin1ELin1ELin1ELin1ELin1ELin1ELin1ELin1EEEvN5torch10headeronly6detail27GenericPackedTensorAccessorINS7_14TensorAccessorINS3_8ArrayRefIlEEKT_Lm4ENS6_16DefaultPtrTraitsEiEENS_6detail16IndexBoundsCheckILm5EiEESD_Lm5ESE_iEENS8_INS9_ISB_SC_Lm4ESE_iEESI_SC_Lm5ESE_iEESJ_iiiiiiiii,"axG",@progbits,_ZN2at6native12_GLOBAL__N_143conv_depthwise3d_cuda_backward_input_kernelIN3c104HalfEfLin1ELin1ELin1ELin1ELin1ELin1ELin1ELin1ELin1EEEvN5torch10headeronly6detail27GenericPackedTensorAccessorINS7_14TensorAccessorINS3_8ArrayRefIlEEKT_Lm4ENS6_16DefaultPtrTraitsEiEENS_6detail16IndexBoundsCheckILm5EiEESD_Lm5ESE_iEENS8_INS9_ISB_SC_Lm4ESE_iEESI_SC_Lm5ESE_iEESJ_iiiiiiiii,comdat
.Lfunc_end26:
	.size	_ZN2at6native12_GLOBAL__N_143conv_depthwise3d_cuda_backward_input_kernelIN3c104HalfEfLin1ELin1ELin1ELin1ELin1ELin1ELin1ELin1ELin1EEEvN5torch10headeronly6detail27GenericPackedTensorAccessorINS7_14TensorAccessorINS3_8ArrayRefIlEEKT_Lm4ENS6_16DefaultPtrTraitsEiEENS_6detail16IndexBoundsCheckILm5EiEESD_Lm5ESE_iEENS8_INS9_ISB_SC_Lm4ESE_iEESI_SC_Lm5ESE_iEESJ_iiiiiiiii, .Lfunc_end26-_ZN2at6native12_GLOBAL__N_143conv_depthwise3d_cuda_backward_input_kernelIN3c104HalfEfLin1ELin1ELin1ELin1ELin1ELin1ELin1ELin1ELin1EEEvN5torch10headeronly6detail27GenericPackedTensorAccessorINS7_14TensorAccessorINS3_8ArrayRefIlEEKT_Lm4ENS6_16DefaultPtrTraitsEiEENS_6detail16IndexBoundsCheckILm5EiEESD_Lm5ESE_iEENS8_INS9_ISB_SC_Lm4ESE_iEESI_SC_Lm5ESE_iEESJ_iiiiiiiii
                                        ; -- End function
	.section	.AMDGPU.csdata,"",@progbits
; Kernel info:
; codeLenInByte = 1996
; NumSgprs: 86
; NumVgprs: 34
; NumAgprs: 0
; TotalNumVgprs: 34
; ScratchSize: 0
; MemoryBound: 0
; FloatMode: 240
; IeeeMode: 1
; LDSByteSize: 0 bytes/workgroup (compile time only)
; SGPRBlocks: 10
; VGPRBlocks: 4
; NumSGPRsForWavesPerEU: 86
; NumVGPRsForWavesPerEU: 34
; AccumOffset: 36
; Occupancy: 8
; WaveLimiterHint : 0
; COMPUTE_PGM_RSRC2:SCRATCH_EN: 0
; COMPUTE_PGM_RSRC2:USER_SGPR: 6
; COMPUTE_PGM_RSRC2:TRAP_HANDLER: 0
; COMPUTE_PGM_RSRC2:TGID_X_EN: 1
; COMPUTE_PGM_RSRC2:TGID_Y_EN: 0
; COMPUTE_PGM_RSRC2:TGID_Z_EN: 0
; COMPUTE_PGM_RSRC2:TIDIG_COMP_CNT: 0
; COMPUTE_PGM_RSRC3_GFX90A:ACCUM_OFFSET: 8
; COMPUTE_PGM_RSRC3_GFX90A:TG_SPLIT: 0
	.section	.text._ZN2at6native12_GLOBAL__N_143conv_depthwise3d_cuda_backward_input_kernelIN3c108BFloat16EfLi3ELi3ELi3ELi1ELi1ELi1ELi1ELi1ELi1EEEvN5torch10headeronly6detail27GenericPackedTensorAccessorINS7_14TensorAccessorINS3_8ArrayRefIlEEKT_Lm4ENS6_16DefaultPtrTraitsEiEENS_6detail16IndexBoundsCheckILm5EiEESD_Lm5ESE_iEENS8_INS9_ISB_SC_Lm4ESE_iEESI_SC_Lm5ESE_iEESJ_iiiiiiiii,"axG",@progbits,_ZN2at6native12_GLOBAL__N_143conv_depthwise3d_cuda_backward_input_kernelIN3c108BFloat16EfLi3ELi3ELi3ELi1ELi1ELi1ELi1ELi1ELi1EEEvN5torch10headeronly6detail27GenericPackedTensorAccessorINS7_14TensorAccessorINS3_8ArrayRefIlEEKT_Lm4ENS6_16DefaultPtrTraitsEiEENS_6detail16IndexBoundsCheckILm5EiEESD_Lm5ESE_iEENS8_INS9_ISB_SC_Lm4ESE_iEESI_SC_Lm5ESE_iEESJ_iiiiiiiii,comdat
	.globl	_ZN2at6native12_GLOBAL__N_143conv_depthwise3d_cuda_backward_input_kernelIN3c108BFloat16EfLi3ELi3ELi3ELi1ELi1ELi1ELi1ELi1ELi1EEEvN5torch10headeronly6detail27GenericPackedTensorAccessorINS7_14TensorAccessorINS3_8ArrayRefIlEEKT_Lm4ENS6_16DefaultPtrTraitsEiEENS_6detail16IndexBoundsCheckILm5EiEESD_Lm5ESE_iEENS8_INS9_ISB_SC_Lm4ESE_iEESI_SC_Lm5ESE_iEESJ_iiiiiiiii ; -- Begin function _ZN2at6native12_GLOBAL__N_143conv_depthwise3d_cuda_backward_input_kernelIN3c108BFloat16EfLi3ELi3ELi3ELi1ELi1ELi1ELi1ELi1ELi1EEEvN5torch10headeronly6detail27GenericPackedTensorAccessorINS7_14TensorAccessorINS3_8ArrayRefIlEEKT_Lm4ENS6_16DefaultPtrTraitsEiEENS_6detail16IndexBoundsCheckILm5EiEESD_Lm5ESE_iEENS8_INS9_ISB_SC_Lm4ESE_iEESI_SC_Lm5ESE_iEESJ_iiiiiiiii
	.p2align	8
	.type	_ZN2at6native12_GLOBAL__N_143conv_depthwise3d_cuda_backward_input_kernelIN3c108BFloat16EfLi3ELi3ELi3ELi1ELi1ELi1ELi1ELi1ELi1EEEvN5torch10headeronly6detail27GenericPackedTensorAccessorINS7_14TensorAccessorINS3_8ArrayRefIlEEKT_Lm4ENS6_16DefaultPtrTraitsEiEENS_6detail16IndexBoundsCheckILm5EiEESD_Lm5ESE_iEENS8_INS9_ISB_SC_Lm4ESE_iEESI_SC_Lm5ESE_iEESJ_iiiiiiiii,@function
_ZN2at6native12_GLOBAL__N_143conv_depthwise3d_cuda_backward_input_kernelIN3c108BFloat16EfLi3ELi3ELi3ELi1ELi1ELi1ELi1ELi1ELi1EEEvN5torch10headeronly6detail27GenericPackedTensorAccessorINS7_14TensorAccessorINS3_8ArrayRefIlEEKT_Lm4ENS6_16DefaultPtrTraitsEiEENS_6detail16IndexBoundsCheckILm5EiEESD_Lm5ESE_iEENS8_INS9_ISB_SC_Lm4ESE_iEESI_SC_Lm5ESE_iEESJ_iiiiiiiii: ; @_ZN2at6native12_GLOBAL__N_143conv_depthwise3d_cuda_backward_input_kernelIN3c108BFloat16EfLi3ELi3ELi3ELi1ELi1ELi1ELi1ELi1ELi1EEEvN5torch10headeronly6detail27GenericPackedTensorAccessorINS7_14TensorAccessorINS3_8ArrayRefIlEEKT_Lm4ENS6_16DefaultPtrTraitsEiEENS_6detail16IndexBoundsCheckILm5EiEESD_Lm5ESE_iEENS8_INS9_ISB_SC_Lm4ESE_iEESI_SC_Lm5ESE_iEESJ_iiiiiiiii
; %bb.0:
	s_load_dwordx4 s[16:19], s[4:5], 0x38
	s_load_dwordx2 s[14:15], s[4:5], 0x48
	s_mov_b64 s[98:99], s[2:3]
	s_mov_b64 s[96:97], s[0:1]
	s_add_u32 s96, s96, s7
	s_addc_u32 s97, s97, 0
	s_waitcnt lgkmcnt(0)
	s_abs_i32 s33, s17
	v_cvt_f32_u32_e32 v2, s33
	s_load_dword s2, s[4:5], 0xc4
	s_add_u32 s0, s4, 0xb8
	v_mov_b32_e32 v1, 0
	v_rcp_iflag_f32_e32 v2, v2
	v_mov_b32_e32 v3, s6
	s_mul_i32 s34, s15, s16
	s_addc_u32 s1, s5, 0
	v_mul_f32_e32 v2, 0x4f7ffffe, v2
	v_cvt_u32_f32_e32 v2, v2
	s_waitcnt lgkmcnt(0)
	s_and_b32 s2, s2, 0xffff
	s_ashr_i32 s35, s34, 31
	v_mad_u64_u32 v[0:1], s[6:7], s2, v3, v[0:1]
	v_readfirstlane_b32 s3, v2
	v_cmp_gt_i64_e32 vcc, s[34:35], v[0:1]
	s_and_saveexec_b64 s[6:7], vcc
	s_cbranch_execz .LBB27_60
; %bb.1:
	s_load_dwordx4 s[20:23], s[4:5], 0xc
	s_load_dwordx2 s[6:7], s[4:5], 0x0
	s_sub_i32 s8, 0, s33
                                        ; implicit-def: $vgpr127 : SGPR spill to VGPR lane
	s_mul_i32 s9, s8, s3
	s_mul_hi_u32 s9, s3, s9
	s_add_i32 s3, s3, s9
	s_waitcnt lgkmcnt(0)
	v_writelane_b32 v127, s6, 0
	v_writelane_b32 v127, s7, 1
	s_abs_i32 s7, s20
	s_mul_hi_u32 s3, s7, s3
	s_mul_i32 s9, s3, s33
	s_ashr_i32 s16, s17, 31
	s_ashr_i32 s6, s20, 31
	s_sub_i32 s7, s7, s9
	s_xor_b32 s6, s6, s16
	s_add_i32 s9, s3, 1
	s_sub_i32 s10, s7, s33
	s_cmp_ge_u32 s7, s33
	s_cselect_b32 s3, s9, s3
	s_cselect_b32 s7, s10, s7
	s_add_i32 s9, s3, 1
	s_cmp_ge_u32 s7, s33
	s_cselect_b32 s3, s9, s3
	s_abs_i32 s93, s14
	v_cvt_f32_u32_e32 v3, s93
	s_load_dwordx4 s[28:31], s[4:5], 0x9c
	s_xor_b32 s3, s3, s6
	s_load_dword s0, s[0:1], 0x0
	v_rcp_iflag_f32_e32 v3, v3
	s_load_dword s1, s[4:5], 0x7c
	s_sub_i32 s20, s3, s6
	s_waitcnt lgkmcnt(0)
	v_writelane_b32 v127, s28, 2
	s_load_dwordx2 s[6:7], s[4:5], 0x60
	v_writelane_b32 v127, s29, 3
	v_writelane_b32 v127, s30, 4
	;; [unrolled: 1-line block ×3, first 2 shown]
	s_load_dwordx4 s[28:31], s[4:5], 0x50
	v_mul_f32_e32 v3, 0x4f7ffffe, v3
	v_writelane_b32 v127, s1, 6
	v_cvt_u32_f32_e32 v3, v3
	s_waitcnt lgkmcnt(0)
	v_writelane_b32 v127, s6, 7
	v_writelane_b32 v127, s7, 8
	s_mul_i32 s0, s0, s2
	v_writelane_b32 v127, s0, 9
	s_abs_i32 s27, s19
	s_sub_i32 s0, 0, s93
	v_cvt_f32_u32_e32 v4, s27
	v_mul_lo_u32 v5, s0, v3
	v_mul_hi_u32 v5, v3, v5
	v_add_u32_e32 v3, v3, v5
	s_abs_i32 s92, s18
	s_load_dwordx2 s[38:39], s[4:5], 0x1c
	s_load_dwordx2 s[40:41], s[4:5], 0x30
	buffer_store_dword v3, off, s[96:99], 0 ; 4-byte Folded Spill
	v_cvt_f32_u32_e32 v3, s92
	v_rcp_iflag_f32_e32 v4, v4
	s_sub_i32 s0, 0, s27
	s_mov_b32 s26, 0
	v_rcp_iflag_f32_e32 v3, v3
	v_mul_f32_e32 v4, 0x4f7ffffe, v4
	v_cvt_u32_f32_e32 v4, v4
	s_ashr_i32 s95, s14, 31
	v_mul_f32_e32 v3, 0x4f7ffffe, v3
	v_cvt_u32_f32_e32 v3, v3
	v_mul_lo_u32 v5, s0, v4
	v_mul_hi_u32 v5, v4, v5
	v_add_u32_e32 v4, v4, v5
	s_sub_i32 s0, 0, s92
	buffer_store_dword v4, off, s[96:99], 0 offset:4 ; 4-byte Folded Spill
	v_mul_lo_u32 v4, s0, v3
	v_mul_hi_u32 v4, v3, v4
	v_add_u32_e32 v62, v3, v4
	v_mul_lo_u32 v3, s8, v2
	v_mul_hi_u32 v3, v2, v3
	s_ashr_i32 s36, s19, 31
	s_ashr_i32 s37, s18, 31
	v_add_u32_e32 v63, v2, v3
	s_mov_b64 s[44:45], 0
	s_movk_i32 s94, 0x7fff
                                        ; kill: killed $sgpr4 killed $sgpr5
	s_branch .LBB27_3
.LBB27_2:                               ;   in Loop: Header=BB27_3 Depth=1
	s_or_b64 exec, exec, s[46:47]
	v_bfe_u32 v2, v71, 16, 1
	v_add3_u32 v2, v71, v2, s94
	v_lshrrev_b32_e32 v2, 16, v2
	v_cmp_o_f32_e32 vcc, v71, v71
	v_mov_b32_e32 v3, 0x7fc0
	v_cndmask_b32_e32 v4, v3, v2, vcc
	v_mul_lo_u32 v2, v68, s15
	v_ashrrev_i32_e32 v3, 31, v2
	v_lshlrev_b64 v[2:3], 1, v[2:3]
	s_waitcnt lgkmcnt(0)
	v_mov_b32_e32 v5, s41
	v_add_co_u32_e32 v6, vcc, s40, v2
	v_mul_lo_u32 v2, s28, v67
	v_addc_co_u32_e32 v5, vcc, v5, v3, vcc
	v_ashrrev_i32_e32 v3, 31, v2
	v_lshlrev_b64 v[2:3], 1, v[2:3]
	v_add_co_u32_e32 v6, vcc, v6, v2
	v_mul_lo_u32 v2, s29, v66
	v_addc_co_u32_e32 v5, vcc, v5, v3, vcc
	v_ashrrev_i32_e32 v3, 31, v2
	v_lshlrev_b64 v[2:3], 1, v[2:3]
	;; [unrolled: 5-line block ×4, first 2 shown]
	v_add_co_u32_e32 v2, vcc, v6, v2
	v_addc_co_u32_e32 v3, vcc, v5, v3, vcc
	v_readlane_b32 s0, v127, 9
	v_mov_b32_e32 v5, s26
	v_add_co_u32_e32 v0, vcc, s0, v0
	v_addc_co_u32_e32 v1, vcc, v1, v5, vcc
	v_cmp_le_i64_e32 vcc, s[34:35], v[0:1]
	s_or_b64 s[44:45], vcc, s[44:45]
	global_store_short v[2:3], v4, off
	s_andn2_b64 exec, exec, s[44:45]
	s_cbranch_execz .LBB27_60
.LBB27_3:                               ; =>This Loop Header: Depth=1
                                        ;     Child Loop BB27_6 Depth 2
	buffer_load_dword v4, off, s[96:99], 0  ; 4-byte Folded Reload
	v_sub_u32_e32 v3, 0, v0
	v_max_i32_e32 v3, v0, v3
	v_ashrrev_i32_e32 v2, 31, v0
	v_xor_b32_e32 v2, s95, v2
	v_mov_b32_e32 v71, 0
	s_waitcnt vmcnt(0)
	v_mul_hi_u32 v4, v3, v4
	v_mul_lo_u32 v5, v4, s93
	v_sub_u32_e32 v3, v3, v5
	v_add_u32_e32 v5, 1, v4
	v_cmp_le_u32_e32 vcc, s93, v3
	v_cndmask_b32_e32 v4, v4, v5, vcc
	v_subrev_u32_e32 v5, s93, v3
	v_cndmask_b32_e32 v3, v3, v5, vcc
	v_add_u32_e32 v5, 1, v4
	v_cmp_le_u32_e32 vcc, s93, v3
	v_cndmask_b32_e32 v3, v4, v5, vcc
	buffer_load_dword v5, off, s[96:99], 0 offset:4 ; 4-byte Folded Reload
	v_xor_b32_e32 v3, v3, v2
	v_sub_u32_e32 v2, v3, v2
	v_sub_u32_e32 v4, 0, v2
	v_max_i32_e32 v4, v2, v4
	v_mul_lo_u32 v3, v2, s14
	v_sub_u32_e32 v64, v0, v3
	v_ashrrev_i32_e32 v3, 31, v2
	v_xor_b32_e32 v3, s36, v3
	s_waitcnt vmcnt(0)
	v_mul_hi_u32 v5, v4, v5
	v_mul_lo_u32 v6, v5, s27
	v_sub_u32_e32 v4, v4, v6
	v_add_u32_e32 v6, 1, v5
	v_cmp_le_u32_e32 vcc, s27, v4
	v_cndmask_b32_e32 v5, v5, v6, vcc
	v_subrev_u32_e32 v6, s27, v4
	v_cndmask_b32_e32 v4, v4, v6, vcc
	v_add_u32_e32 v6, 1, v5
	v_cmp_le_u32_e32 vcc, s27, v4
	v_cndmask_b32_e32 v4, v5, v6, vcc
	v_xor_b32_e32 v4, v4, v3
	v_sub_u32_e32 v3, v4, v3
	v_mul_lo_u32 v4, v3, s19
	v_sub_u32_e32 v65, v2, v4
	v_sub_u32_e32 v4, 0, v3
	v_max_i32_e32 v4, v3, v4
	v_mul_hi_u32 v5, v4, v62
	v_mul_lo_u32 v6, v5, s92
	v_sub_u32_e32 v4, v4, v6
	v_add_u32_e32 v6, 1, v5
	v_cmp_le_u32_e32 vcc, s92, v4
	v_cndmask_b32_e32 v5, v5, v6, vcc
	v_subrev_u32_e32 v6, s92, v4
	v_cndmask_b32_e32 v4, v4, v6, vcc
	v_ashrrev_i32_e32 v2, 31, v3
	v_add_u32_e32 v6, 1, v5
	v_cmp_le_u32_e32 vcc, s92, v4
	v_xor_b32_e32 v2, s37, v2
	v_cndmask_b32_e32 v4, v5, v6, vcc
	v_xor_b32_e32 v4, v4, v2
	v_sub_u32_e32 v2, v4, v2
	v_mul_lo_u32 v4, v2, s18
	v_sub_u32_e32 v66, v3, v4
	v_sub_u32_e32 v4, 0, v2
	v_max_i32_e32 v4, v2, v4
	v_mul_hi_u32 v5, v4, v63
	v_mul_lo_u32 v6, v5, s33
	v_sub_u32_e32 v4, v4, v6
	v_add_u32_e32 v6, 1, v5
	v_cmp_le_u32_e32 vcc, s33, v4
	v_cndmask_b32_e32 v5, v5, v6, vcc
	v_subrev_u32_e32 v6, s33, v4
	v_cndmask_b32_e32 v4, v4, v6, vcc
	v_ashrrev_i32_e32 v3, 31, v2
	v_add_u32_e32 v6, 1, v5
	v_cmp_le_u32_e32 vcc, s33, v4
	v_xor_b32_e32 v3, s16, v3
	v_cndmask_b32_e32 v4, v5, v6, vcc
	v_xor_b32_e32 v4, v4, v3
	v_sub_u32_e32 v68, v4, v3
	v_mul_lo_u32 v3, v68, s17
	v_sub_u32_e32 v67, v2, v3
	v_mul_lo_u32 v2, v67, s20
	v_add_u32_e32 v3, s20, v2
	v_cmp_lt_i32_e32 vcc, v2, v3
	s_and_saveexec_b64 s[46:47], vcc
	s_cbranch_execz .LBB27_2
; %bb.4:                                ;   in Loop: Header=BB27_3 Depth=1
	v_readlane_b32 s0, v127, 2
	v_add_u32_e32 v13, s0, v66
	v_readlane_b32 s0, v127, 6
	v_readlane_b32 s1, v127, 3
	v_mul_lo_u32 v2, s0, v2
	v_add_u32_e32 v5, s1, v65
	v_ashrrev_i32_e32 v3, 31, v2
	v_readlane_b32 s0, v127, 7
	v_lshlrev_b64 v[2:3], 1, v[2:3]
	v_readlane_b32 s1, v127, 8
	s_waitcnt lgkmcnt(0)
	v_mul_lo_u32 v6, s38, v68
	v_mov_b32_e32 v4, s1
	v_add_co_u32_e32 v2, vcc, s0, v2
	v_ashrrev_i32_e32 v7, 31, v6
	v_readlane_b32 s0, v127, 0
	v_addc_co_u32_e32 v3, vcc, v4, v3, vcc
	v_lshlrev_b64 v[6:7], 1, v[6:7]
	v_readlane_b32 s1, v127, 1
	v_readlane_b32 s2, v127, 4
	v_mov_b32_e32 v4, s1
	v_add_co_u32_e32 v69, vcc, s0, v6
	v_mul_lo_u32 v15, v13, s22
	v_add_u32_e32 v40, s2, v64
	v_addc_co_u32_e32 v70, vcc, v4, v7, vcc
	v_add_u32_e32 v4, v5, v15
	v_mul_lo_u32 v8, v4, s23
	v_or_b32_e32 v4, v40, v5
	v_add_u32_e32 v11, -2, v13
	v_add_u32_e32 v19, -1, v13
	v_or_b32_e32 v17, v4, v11
	v_or_b32_e32 v21, v4, v19
	;; [unrolled: 1-line block ×3, first 2 shown]
	v_add_u32_e32 v41, -1, v40
	v_readlane_b32 s3, v127, 5
	v_cmp_lt_i32_e32 vcc, -1, v4
	v_cmp_gt_i32_e64 s[0:1], s23, v40
	v_or_b32_e32 v6, v41, v5
	v_cmp_gt_i32_e64 s[8:9], s22, v5
	s_and_b64 s[2:3], s[0:1], vcc
	v_or_b32_e32 v23, v6, v11
	v_or_b32_e32 v24, v6, v19
	;; [unrolled: 1-line block ×3, first 2 shown]
	v_cmp_gt_i32_e64 s[10:11], s21, v13
	s_and_b64 s[2:3], s[2:3], s[8:9]
	v_cmp_lt_i32_e32 vcc, -1, v6
	v_cmp_gt_i32_e64 s[4:5], s23, v41
	v_add_u32_e32 v42, -2, v40
	s_and_b64 s[48:49], s[2:3], s[10:11]
	s_and_b64 s[2:3], s[4:5], vcc
	v_or_b32_e32 v22, v42, v5
	s_and_b64 s[2:3], s[2:3], s[8:9]
	v_or_b32_e32 v25, v22, v11
	v_or_b32_e32 v26, v22, v19
	;; [unrolled: 1-line block ×3, first 2 shown]
	v_add_u32_e32 v9, -1, v5
	s_and_b64 s[50:51], s[2:3], s[10:11]
	v_cmp_lt_i32_e64 s[2:3], -1, v22
	v_cmp_gt_i32_e32 vcc, s23, v42
	v_or_b32_e32 v10, v40, v9
	s_and_b64 s[2:3], vcc, s[2:3]
	s_and_b64 s[2:3], s[2:3], s[8:9]
	v_or_b32_e32 v27, v10, v11
	v_or_b32_e32 v28, v10, v19
	;; [unrolled: 1-line block ×3, first 2 shown]
	s_and_b64 s[52:53], s[2:3], s[10:11]
	v_cmp_lt_i32_e64 s[2:3], -1, v10
	v_or_b32_e32 v12, v41, v9
	v_cmp_gt_i32_e64 s[6:7], s22, v9
	s_and_b64 s[2:3], s[0:1], s[2:3]
	s_and_b64 s[2:3], s[2:3], s[6:7]
	v_or_b32_e32 v29, v12, v11
	v_or_b32_e32 v30, v12, v19
	;; [unrolled: 1-line block ×3, first 2 shown]
	s_and_b64 s[54:55], s[2:3], s[10:11]
	v_cmp_lt_i32_e64 s[2:3], -1, v12
	v_or_b32_e32 v14, v42, v9
	s_and_b64 s[2:3], s[4:5], s[2:3]
	v_add_u32_e32 v7, -2, v5
	s_and_b64 s[2:3], s[2:3], s[6:7]
	v_or_b32_e32 v31, v14, v11
	v_or_b32_e32 v32, v14, v19
	v_or_b32_e32 v14, v14, v13
	v_or_b32_e32 v16, v40, v7
	s_and_b64 s[56:57], s[2:3], s[10:11]
	v_cmp_lt_i32_e64 s[2:3], -1, v14
	s_and_b64 s[2:3], vcc, s[2:3]
	v_or_b32_e32 v33, v16, v11
	v_or_b32_e32 v34, v16, v19
	;; [unrolled: 1-line block ×3, first 2 shown]
	s_and_b64 s[2:3], s[2:3], s[6:7]
	v_cmp_lt_i32_e64 s[12:13], -1, v16
	v_or_b32_e32 v18, v41, v7
	s_and_b64 s[58:59], s[2:3], s[10:11]
	v_cmp_gt_i32_e64 s[2:3], s22, v7
	s_and_b64 s[12:13], s[0:1], s[12:13]
	s_and_b64 s[12:13], s[12:13], s[2:3]
	v_or_b32_e32 v35, v18, v11
	v_or_b32_e32 v36, v18, v19
	;; [unrolled: 1-line block ×3, first 2 shown]
	s_and_b64 s[60:61], s[12:13], s[10:11]
	v_cmp_lt_i32_e64 s[12:13], -1, v18
	v_or_b32_e32 v20, v42, v7
	s_and_b64 s[12:13], s[4:5], s[12:13]
	s_and_b64 s[12:13], s[12:13], s[2:3]
	v_or_b32_e32 v13, v20, v13
	s_and_b64 s[62:63], s[12:13], s[10:11]
	v_cmp_lt_i32_e64 s[12:13], -1, v13
	s_and_b64 s[12:13], vcc, s[12:13]
	s_and_b64 s[12:13], s[12:13], s[2:3]
	s_and_b64 s[64:65], s[12:13], s[10:11]
	v_cmp_lt_i32_e64 s[12:13], -1, v21
	s_and_b64 s[82:83], s[0:1], s[8:9]
	v_cmp_gt_i32_e64 s[10:11], s21, v19
	s_and_b64 s[12:13], s[82:83], s[12:13]
	s_and_b64 s[66:67], s[12:13], s[10:11]
	v_cmp_lt_i32_e64 s[12:13], -1, v24
	s_and_b64 s[84:85], s[4:5], s[8:9]
	s_and_b64 s[12:13], s[84:85], s[12:13]
	;; [unrolled: 1-line block ×3, first 2 shown]
	v_cmp_lt_i32_e64 s[12:13], -1, v26
	s_and_b64 s[86:87], vcc, s[8:9]
	s_and_b64 s[8:9], s[86:87], s[12:13]
	s_and_b64 s[70:71], s[8:9], s[10:11]
	v_cmp_lt_i32_e64 s[8:9], -1, v28
	s_and_b64 s[8:9], s[0:1], s[8:9]
	s_and_b64 s[8:9], s[8:9], s[6:7]
	;; [unrolled: 1-line block ×3, first 2 shown]
	v_cmp_lt_i32_e64 s[8:9], -1, v30
	s_and_b64 s[8:9], s[4:5], s[8:9]
	s_and_b64 s[8:9], s[8:9], s[6:7]
	s_and_b64 s[74:75], s[8:9], s[10:11]
	v_cmp_lt_i32_e64 s[8:9], -1, v32
	s_and_b64 s[8:9], vcc, s[8:9]
	s_and_b64 s[8:9], s[8:9], s[6:7]
	s_and_b64 s[76:77], s[8:9], s[10:11]
	v_cmp_lt_i32_e64 s[8:9], -1, v34
	s_and_b64 s[8:9], s[0:1], s[8:9]
	s_and_b64 s[8:9], s[8:9], s[2:3]
	;; [unrolled: 1-line block ×3, first 2 shown]
	v_cmp_lt_i32_e64 s[8:9], -1, v36
	s_and_b64 s[8:9], s[4:5], s[8:9]
	v_or_b32_e32 v38, v20, v19
	s_and_b64 s[8:9], s[8:9], s[2:3]
	s_and_b64 s[80:81], s[8:9], s[10:11]
	v_cmp_lt_i32_e64 s[8:9], -1, v38
	s_and_b64 s[8:9], vcc, s[8:9]
	s_and_b64 s[8:9], s[8:9], s[2:3]
	v_cmp_lt_i32_e64 s[12:13], -1, v17
	s_and_b64 s[10:11], s[8:9], s[10:11]
	v_cmp_lt_i32_e64 s[8:9], -1, v23
	s_and_b64 s[12:13], s[82:83], s[12:13]
	s_and_b64 s[82:83], s[84:85], s[8:9]
	v_cmp_lt_i32_e64 s[8:9], -1, v25
	s_and_b64 s[84:85], s[86:87], s[8:9]
	v_cmp_lt_i32_e64 s[8:9], -1, v27
	s_and_b64 s[8:9], s[0:1], s[8:9]
	s_and_b64 s[86:87], s[8:9], s[6:7]
	v_cmp_lt_i32_e64 s[8:9], -1, v29
	s_and_b64 s[8:9], s[4:5], s[8:9]
	s_and_b64 s[88:89], s[8:9], s[6:7]
	v_cmp_lt_i32_e64 s[8:9], -1, v31
	v_add_u32_e32 v22, v9, v15
	s_and_b64 s[8:9], vcc, s[8:9]
	v_mul_lo_u32 v22, v22, s23
	v_subrev_u32_e32 v13, s22, v15
	s_and_b64 s[90:91], s[8:9], s[6:7]
	v_cmp_lt_i32_e64 s[6:7], -1, v33
	v_add_u32_e32 v10, v40, v22
	v_add_u32_e32 v12, v41, v22
	;; [unrolled: 1-line block ×5, first 2 shown]
	s_and_b64 s[42:43], s[0:1], s[6:7]
	v_cmp_lt_i32_e64 s[0:1], -1, v35
	v_mul_lo_u32 v22, v22, s23
	v_or_b32_e32 v37, v20, v11
	v_mul_lo_u32 v15, v15, s23
	s_and_b64 s[24:25], s[4:5], s[0:1]
	v_cmp_gt_i32_e64 s[0:1], s21, v11
	v_subrev_u32_e32 v11, s22, v13
	v_add_u32_e32 v16, v40, v22
	v_add_u32_e32 v18, v41, v22
	;; [unrolled: 1-line block ×8, first 2 shown]
	v_mul_lo_u32 v15, v15, s23
	v_mul_lo_u32 v5, v5, s23
	v_add_u32_e32 v28, v40, v15
	v_add_u32_e32 v30, v41, v15
	;; [unrolled: 1-line block ×9, first 2 shown]
	v_cmp_lt_i32_e64 s[4:5], -1, v37
	v_mul_lo_u32 v15, v15, s23
	v_mul_lo_u32 v5, v5, s23
	v_mul_lo_u32 v43, v43, s23
	s_and_b64 s[4:5], vcc, s[4:5]
	v_add_u32_e32 v4, v40, v8
	v_add_u32_e32 v6, v41, v8
	;; [unrolled: 1-line block ×9, first 2 shown]
	s_and_b64 s[42:43], s[42:43], s[2:3]
	v_add_u32_e32 v56, v40, v43
	s_and_b64 s[24:25], s[24:25], s[2:3]
	v_add_u32_e32 v58, v41, v43
	;; [unrolled: 2-line block ×3, first 2 shown]
	v_ashrrev_i32_e32 v5, 31, v4
	v_ashrrev_i32_e32 v7, 31, v6
	;; [unrolled: 1-line block ×18, first 2 shown]
	s_and_b64 s[6:7], s[12:13], s[0:1]
	v_ashrrev_i32_e32 v45, 31, v44
	s_and_b64 s[8:9], s[82:83], s[0:1]
	v_ashrrev_i32_e32 v47, 31, v46
	;; [unrolled: 2-line block ×9, first 2 shown]
	s_mul_i32 s2, s39, s20
	v_lshlrev_b64 v[4:5], 1, v[4:5]
	v_lshlrev_b64 v[6:7], 1, v[6:7]
	;; [unrolled: 1-line block ×27, first 2 shown]
	s_mov_b32 s4, s20
	v_mov_b32_e32 v71, 0
	v_mul_lo_u32 v58, s2, v67
	s_branch .LBB27_6
.LBB27_5:                               ;   in Loop: Header=BB27_6 Depth=2
	s_or_b64 exec, exec, s[2:3]
	s_waitcnt vmcnt(26)
	v_lshlrev_b32_e32 v60, 16, v72
	v_fmac_f32_e32 v71, v59, v60
	s_waitcnt vmcnt(25)
	v_lshlrev_b32_e32 v59, 16, v75
	v_fmac_f32_e32 v71, v77, v59
	;; [unrolled: 3-line block ×26, first 2 shown]
	s_waitcnt vmcnt(0)
	v_lshlrev_b32_e32 v59, 16, v126
	v_add_co_u32_e32 v2, vcc, 54, v2
	s_add_i32 s4, s4, -1
	v_fmac_f32_e32 v71, v124, v59
	v_addc_co_u32_e32 v3, vcc, 0, v3, vcc
	s_cmp_eq_u32 s4, 0
	v_add_u32_e32 v58, s39, v58
	s_cbranch_scc1 .LBB27_2
.LBB27_6:                               ;   Parent Loop BB27_3 Depth=1
                                        ; =>  This Inner Loop Header: Depth=2
	global_load_ushort v72, v[2:3], off
	v_ashrrev_i32_e32 v59, 31, v58
	v_lshlrev_b64 v[74:75], 1, v[58:59]
	v_add_co_u32_e32 v73, vcc, v69, v74
	v_addc_co_u32_e32 v74, vcc, v70, v75, vcc
	v_mov_b32_e32 v59, 0
	s_and_saveexec_b64 s[2:3], s[48:49]
	s_cbranch_execz .LBB27_8
; %bb.7:                                ;   in Loop: Header=BB27_6 Depth=2
	v_add_co_u32_e32 v76, vcc, v73, v4
	v_addc_co_u32_e32 v77, vcc, v74, v5, vcc
	global_load_ushort v59, v[76:77], off
	s_waitcnt vmcnt(0)
	v_lshlrev_b32_e32 v59, 16, v59
.LBB27_8:                               ;   in Loop: Header=BB27_6 Depth=2
	s_or_b64 exec, exec, s[2:3]
	global_load_ushort v75, v[2:3], off offset:2
	v_mov_b32_e32 v76, 0
	v_mov_b32_e32 v77, 0
	s_and_saveexec_b64 s[2:3], s[50:51]
	s_cbranch_execz .LBB27_10
; %bb.9:                                ;   in Loop: Header=BB27_6 Depth=2
	v_add_co_u32_e32 v78, vcc, v73, v6
	v_addc_co_u32_e32 v79, vcc, v74, v7, vcc
	global_load_ushort v60, v[78:79], off
	s_waitcnt vmcnt(0)
	v_lshlrev_b32_e32 v77, 16, v60
.LBB27_10:                              ;   in Loop: Header=BB27_6 Depth=2
	s_or_b64 exec, exec, s[2:3]
	global_load_ushort v78, v[2:3], off offset:4
	s_and_saveexec_b64 s[2:3], s[52:53]
	s_cbranch_execz .LBB27_12
; %bb.11:                               ;   in Loop: Header=BB27_6 Depth=2
	v_add_co_u32_e32 v80, vcc, v73, v8
	v_addc_co_u32_e32 v81, vcc, v74, v9, vcc
	global_load_ushort v60, v[80:81], off
	s_waitcnt vmcnt(0)
	v_lshlrev_b32_e32 v76, 16, v60
.LBB27_12:                              ;   in Loop: Header=BB27_6 Depth=2
	s_or_b64 exec, exec, s[2:3]
	global_load_ushort v79, v[2:3], off offset:6
	v_mov_b32_e32 v80, 0
	v_mov_b32_e32 v81, 0
	s_and_saveexec_b64 s[2:3], s[54:55]
	s_cbranch_execz .LBB27_14
; %bb.13:                               ;   in Loop: Header=BB27_6 Depth=2
	v_add_co_u32_e32 v82, vcc, v73, v10
	v_addc_co_u32_e32 v83, vcc, v74, v11, vcc
	global_load_ushort v60, v[82:83], off
	s_waitcnt vmcnt(0)
	v_lshlrev_b32_e32 v81, 16, v60
.LBB27_14:                              ;   in Loop: Header=BB27_6 Depth=2
	s_or_b64 exec, exec, s[2:3]
	global_load_ushort v82, v[2:3], off offset:8
	s_and_saveexec_b64 s[2:3], s[56:57]
	s_cbranch_execz .LBB27_16
; %bb.15:                               ;   in Loop: Header=BB27_6 Depth=2
	v_add_co_u32_e32 v84, vcc, v73, v12
	v_addc_co_u32_e32 v85, vcc, v74, v13, vcc
	global_load_ushort v60, v[84:85], off
	s_waitcnt vmcnt(0)
	v_lshlrev_b32_e32 v80, 16, v60
.LBB27_16:                              ;   in Loop: Header=BB27_6 Depth=2
	s_or_b64 exec, exec, s[2:3]
	global_load_ushort v83, v[2:3], off offset:10
	v_mov_b32_e32 v84, 0
	v_mov_b32_e32 v85, 0
	s_and_saveexec_b64 s[2:3], s[58:59]
	s_cbranch_execz .LBB27_18
; %bb.17:                               ;   in Loop: Header=BB27_6 Depth=2
	v_add_co_u32_e32 v86, vcc, v73, v14
	v_addc_co_u32_e32 v87, vcc, v74, v15, vcc
	global_load_ushort v60, v[86:87], off
	s_waitcnt vmcnt(0)
	v_lshlrev_b32_e32 v85, 16, v60
.LBB27_18:                              ;   in Loop: Header=BB27_6 Depth=2
	;; [unrolled: 24-line block ×12, first 2 shown]
	s_or_b64 exec, exec, s[2:3]
	global_load_ushort v126, v[2:3], off offset:52
	s_and_saveexec_b64 s[2:3], s[0:1]
	s_cbranch_execz .LBB27_5
; %bb.59:                               ;   in Loop: Header=BB27_6 Depth=2
	v_add_co_u32_e32 v60, vcc, v73, v56
	v_addc_co_u32_e32 v61, vcc, v74, v57, vcc
	global_load_ushort v60, v[60:61], off
	s_waitcnt vmcnt(0)
	v_lshlrev_b32_e32 v124, 16, v60
	s_branch .LBB27_5
.LBB27_60:
	s_endpgm
	.section	.rodata,"a",@progbits
	.p2align	6, 0x0
	.amdhsa_kernel _ZN2at6native12_GLOBAL__N_143conv_depthwise3d_cuda_backward_input_kernelIN3c108BFloat16EfLi3ELi3ELi3ELi1ELi1ELi1ELi1ELi1ELi1EEEvN5torch10headeronly6detail27GenericPackedTensorAccessorINS7_14TensorAccessorINS3_8ArrayRefIlEEKT_Lm4ENS6_16DefaultPtrTraitsEiEENS_6detail16IndexBoundsCheckILm5EiEESD_Lm5ESE_iEENS8_INS9_ISB_SC_Lm4ESE_iEESI_SC_Lm5ESE_iEESJ_iiiiiiiii
		.amdhsa_group_segment_fixed_size 0
		.amdhsa_private_segment_fixed_size 12
		.amdhsa_kernarg_size 440
		.amdhsa_user_sgpr_count 6
		.amdhsa_user_sgpr_private_segment_buffer 1
		.amdhsa_user_sgpr_dispatch_ptr 0
		.amdhsa_user_sgpr_queue_ptr 0
		.amdhsa_user_sgpr_kernarg_segment_ptr 1
		.amdhsa_user_sgpr_dispatch_id 0
		.amdhsa_user_sgpr_flat_scratch_init 0
		.amdhsa_user_sgpr_kernarg_preload_length 0
		.amdhsa_user_sgpr_kernarg_preload_offset 0
		.amdhsa_user_sgpr_private_segment_size 0
		.amdhsa_uses_dynamic_stack 0
		.amdhsa_system_sgpr_private_segment_wavefront_offset 1
		.amdhsa_system_sgpr_workgroup_id_x 1
		.amdhsa_system_sgpr_workgroup_id_y 0
		.amdhsa_system_sgpr_workgroup_id_z 0
		.amdhsa_system_sgpr_workgroup_info 0
		.amdhsa_system_vgpr_workitem_id 0
		.amdhsa_next_free_vgpr 128
		.amdhsa_next_free_sgpr 100
		.amdhsa_accum_offset 128
		.amdhsa_reserve_vcc 1
		.amdhsa_reserve_flat_scratch 0
		.amdhsa_float_round_mode_32 0
		.amdhsa_float_round_mode_16_64 0
		.amdhsa_float_denorm_mode_32 3
		.amdhsa_float_denorm_mode_16_64 3
		.amdhsa_dx10_clamp 1
		.amdhsa_ieee_mode 1
		.amdhsa_fp16_overflow 0
		.amdhsa_tg_split 0
		.amdhsa_exception_fp_ieee_invalid_op 0
		.amdhsa_exception_fp_denorm_src 0
		.amdhsa_exception_fp_ieee_div_zero 0
		.amdhsa_exception_fp_ieee_overflow 0
		.amdhsa_exception_fp_ieee_underflow 0
		.amdhsa_exception_fp_ieee_inexact 0
		.amdhsa_exception_int_div_zero 0
	.end_amdhsa_kernel
	.section	.text._ZN2at6native12_GLOBAL__N_143conv_depthwise3d_cuda_backward_input_kernelIN3c108BFloat16EfLi3ELi3ELi3ELi1ELi1ELi1ELi1ELi1ELi1EEEvN5torch10headeronly6detail27GenericPackedTensorAccessorINS7_14TensorAccessorINS3_8ArrayRefIlEEKT_Lm4ENS6_16DefaultPtrTraitsEiEENS_6detail16IndexBoundsCheckILm5EiEESD_Lm5ESE_iEENS8_INS9_ISB_SC_Lm4ESE_iEESI_SC_Lm5ESE_iEESJ_iiiiiiiii,"axG",@progbits,_ZN2at6native12_GLOBAL__N_143conv_depthwise3d_cuda_backward_input_kernelIN3c108BFloat16EfLi3ELi3ELi3ELi1ELi1ELi1ELi1ELi1ELi1EEEvN5torch10headeronly6detail27GenericPackedTensorAccessorINS7_14TensorAccessorINS3_8ArrayRefIlEEKT_Lm4ENS6_16DefaultPtrTraitsEiEENS_6detail16IndexBoundsCheckILm5EiEESD_Lm5ESE_iEENS8_INS9_ISB_SC_Lm4ESE_iEESI_SC_Lm5ESE_iEESJ_iiiiiiiii,comdat
.Lfunc_end27:
	.size	_ZN2at6native12_GLOBAL__N_143conv_depthwise3d_cuda_backward_input_kernelIN3c108BFloat16EfLi3ELi3ELi3ELi1ELi1ELi1ELi1ELi1ELi1EEEvN5torch10headeronly6detail27GenericPackedTensorAccessorINS7_14TensorAccessorINS3_8ArrayRefIlEEKT_Lm4ENS6_16DefaultPtrTraitsEiEENS_6detail16IndexBoundsCheckILm5EiEESD_Lm5ESE_iEENS8_INS9_ISB_SC_Lm4ESE_iEESI_SC_Lm5ESE_iEESJ_iiiiiiiii, .Lfunc_end27-_ZN2at6native12_GLOBAL__N_143conv_depthwise3d_cuda_backward_input_kernelIN3c108BFloat16EfLi3ELi3ELi3ELi1ELi1ELi1ELi1ELi1ELi1EEEvN5torch10headeronly6detail27GenericPackedTensorAccessorINS7_14TensorAccessorINS3_8ArrayRefIlEEKT_Lm4ENS6_16DefaultPtrTraitsEiEENS_6detail16IndexBoundsCheckILm5EiEESD_Lm5ESE_iEENS8_INS9_ISB_SC_Lm4ESE_iEESI_SC_Lm5ESE_iEESJ_iiiiiiiii
                                        ; -- End function
	.section	.AMDGPU.csdata,"",@progbits
; Kernel info:
; codeLenInByte = 4388
; NumSgprs: 104
; NumVgprs: 128
; NumAgprs: 0
; TotalNumVgprs: 128
; ScratchSize: 12
; MemoryBound: 0
; FloatMode: 240
; IeeeMode: 1
; LDSByteSize: 0 bytes/workgroup (compile time only)
; SGPRBlocks: 12
; VGPRBlocks: 15
; NumSGPRsForWavesPerEU: 104
; NumVGPRsForWavesPerEU: 128
; AccumOffset: 128
; Occupancy: 4
; WaveLimiterHint : 0
; COMPUTE_PGM_RSRC2:SCRATCH_EN: 1
; COMPUTE_PGM_RSRC2:USER_SGPR: 6
; COMPUTE_PGM_RSRC2:TRAP_HANDLER: 0
; COMPUTE_PGM_RSRC2:TGID_X_EN: 1
; COMPUTE_PGM_RSRC2:TGID_Y_EN: 0
; COMPUTE_PGM_RSRC2:TGID_Z_EN: 0
; COMPUTE_PGM_RSRC2:TIDIG_COMP_CNT: 0
; COMPUTE_PGM_RSRC3_GFX90A:ACCUM_OFFSET: 31
; COMPUTE_PGM_RSRC3_GFX90A:TG_SPLIT: 0
	.section	.text._ZN2at6native12_GLOBAL__N_143conv_depthwise3d_cuda_backward_input_kernelIN3c108BFloat16EfLi3ELi3ELi3ELi1ELi1ELi1ELin1ELin1ELin1EEEvN5torch10headeronly6detail27GenericPackedTensorAccessorINS7_14TensorAccessorINS3_8ArrayRefIlEEKT_Lm4ENS6_16DefaultPtrTraitsEiEENS_6detail16IndexBoundsCheckILm5EiEESD_Lm5ESE_iEENS8_INS9_ISB_SC_Lm4ESE_iEESI_SC_Lm5ESE_iEESJ_iiiiiiiii,"axG",@progbits,_ZN2at6native12_GLOBAL__N_143conv_depthwise3d_cuda_backward_input_kernelIN3c108BFloat16EfLi3ELi3ELi3ELi1ELi1ELi1ELin1ELin1ELin1EEEvN5torch10headeronly6detail27GenericPackedTensorAccessorINS7_14TensorAccessorINS3_8ArrayRefIlEEKT_Lm4ENS6_16DefaultPtrTraitsEiEENS_6detail16IndexBoundsCheckILm5EiEESD_Lm5ESE_iEENS8_INS9_ISB_SC_Lm4ESE_iEESI_SC_Lm5ESE_iEESJ_iiiiiiiii,comdat
	.globl	_ZN2at6native12_GLOBAL__N_143conv_depthwise3d_cuda_backward_input_kernelIN3c108BFloat16EfLi3ELi3ELi3ELi1ELi1ELi1ELin1ELin1ELin1EEEvN5torch10headeronly6detail27GenericPackedTensorAccessorINS7_14TensorAccessorINS3_8ArrayRefIlEEKT_Lm4ENS6_16DefaultPtrTraitsEiEENS_6detail16IndexBoundsCheckILm5EiEESD_Lm5ESE_iEENS8_INS9_ISB_SC_Lm4ESE_iEESI_SC_Lm5ESE_iEESJ_iiiiiiiii ; -- Begin function _ZN2at6native12_GLOBAL__N_143conv_depthwise3d_cuda_backward_input_kernelIN3c108BFloat16EfLi3ELi3ELi3ELi1ELi1ELi1ELin1ELin1ELin1EEEvN5torch10headeronly6detail27GenericPackedTensorAccessorINS7_14TensorAccessorINS3_8ArrayRefIlEEKT_Lm4ENS6_16DefaultPtrTraitsEiEENS_6detail16IndexBoundsCheckILm5EiEESD_Lm5ESE_iEENS8_INS9_ISB_SC_Lm4ESE_iEESI_SC_Lm5ESE_iEESJ_iiiiiiiii
	.p2align	8
	.type	_ZN2at6native12_GLOBAL__N_143conv_depthwise3d_cuda_backward_input_kernelIN3c108BFloat16EfLi3ELi3ELi3ELi1ELi1ELi1ELin1ELin1ELin1EEEvN5torch10headeronly6detail27GenericPackedTensorAccessorINS7_14TensorAccessorINS3_8ArrayRefIlEEKT_Lm4ENS6_16DefaultPtrTraitsEiEENS_6detail16IndexBoundsCheckILm5EiEESD_Lm5ESE_iEENS8_INS9_ISB_SC_Lm4ESE_iEESI_SC_Lm5ESE_iEESJ_iiiiiiiii,@function
_ZN2at6native12_GLOBAL__N_143conv_depthwise3d_cuda_backward_input_kernelIN3c108BFloat16EfLi3ELi3ELi3ELi1ELi1ELi1ELin1ELin1ELin1EEEvN5torch10headeronly6detail27GenericPackedTensorAccessorINS7_14TensorAccessorINS3_8ArrayRefIlEEKT_Lm4ENS6_16DefaultPtrTraitsEiEENS_6detail16IndexBoundsCheckILm5EiEESD_Lm5ESE_iEENS8_INS9_ISB_SC_Lm4ESE_iEESI_SC_Lm5ESE_iEESJ_iiiiiiiii: ; @_ZN2at6native12_GLOBAL__N_143conv_depthwise3d_cuda_backward_input_kernelIN3c108BFloat16EfLi3ELi3ELi3ELi1ELi1ELi1ELin1ELin1ELin1EEEvN5torch10headeronly6detail27GenericPackedTensorAccessorINS7_14TensorAccessorINS3_8ArrayRefIlEEKT_Lm4ENS6_16DefaultPtrTraitsEiEENS_6detail16IndexBoundsCheckILm5EiEESD_Lm5ESE_iEENS8_INS9_ISB_SC_Lm4ESE_iEESI_SC_Lm5ESE_iEESJ_iiiiiiiii
; %bb.0:
	s_load_dwordx4 s[8:11], s[4:5], 0x38
	s_load_dwordx2 s[16:17], s[4:5], 0x48
	s_mov_b64 s[98:99], s[2:3]
	s_mov_b64 s[96:97], s[0:1]
	s_add_u32 s96, s96, s7
	s_addc_u32 s97, s97, 0
	s_waitcnt lgkmcnt(0)
	s_abs_i32 s0, s9
	v_cvt_f32_u32_e32 v2, s0
                                        ; implicit-def: $vgpr126 : SGPR spill to VGPR lane
	s_load_dword s2, s[4:5], 0xc4
	v_writelane_b32 v126, s0, 0
	v_writelane_b32 v126, s8, 1
	v_rcp_iflag_f32_e32 v2, v2
	v_writelane_b32 v126, s9, 2
	v_writelane_b32 v126, s10, 3
	;; [unrolled: 1-line block ×3, first 2 shown]
	v_mul_f32_e32 v2, 0x4f7ffffe, v2
	v_cvt_u32_f32_e32 v2, v2
	s_mul_i32 s8, s17, s8
	s_add_u32 s0, s4, 0xb8
	v_mov_b32_e32 v1, 0
	v_mov_b32_e32 v3, s6
	s_addc_u32 s1, s5, 0
	s_waitcnt lgkmcnt(0)
	s_and_b32 s2, s2, 0xffff
	s_ashr_i32 s9, s8, 31
	v_mad_u64_u32 v[0:1], s[6:7], s2, v3, v[0:1]
	v_writelane_b32 v126, s8, 5
	v_readfirstlane_b32 s3, v2
	v_writelane_b32 v126, s9, 6
	v_cmp_gt_i64_e32 vcc, s[8:9], v[0:1]
	s_and_saveexec_b64 s[6:7], vcc
	s_cbranch_execz .LBB28_60
; %bb.1:
	s_load_dwordx2 s[6:7], s[4:5], 0x0
	s_load_dwordx4 s[24:27], s[4:5], 0x50
	s_load_dwordx4 s[8:11], s[4:5], 0xc
	;; [unrolled: 1-line block ×3, first 2 shown]
	s_mov_b32 s75, 0
	s_load_dword s0, s[0:1], 0x0
	s_waitcnt lgkmcnt(0)
	v_writelane_b32 v126, s6, 7
	v_writelane_b32 v126, s7, 8
	s_ashr_i32 s6, s8, 31
	v_writelane_b32 v126, s8, 9
	v_writelane_b32 v126, s9, 10
	;; [unrolled: 1-line block ×4, first 2 shown]
	v_readlane_b32 s11, v126, 0
	s_abs_i32 s7, s8
	s_sub_i32 s8, 0, s11
	s_mul_i32 s9, s8, s3
	s_mul_hi_u32 s9, s3, s9
	s_add_i32 s3, s3, s9
	s_mul_hi_u32 s3, s7, s3
	s_mul_i32 s9, s3, s11
	s_ashr_i32 s74, s13, 31
	s_sub_i32 s7, s7, s9
	s_xor_b32 s6, s6, s74
	s_add_i32 s9, s3, 1
	s_sub_i32 s10, s7, s11
	s_cmp_ge_u32 s7, s11
	s_cselect_b32 s3, s9, s3
	s_cselect_b32 s7, s10, s7
	s_add_i32 s9, s3, 1
	s_cmp_ge_u32 s7, s11
	s_load_dwordx2 s[12:13], s[4:5], 0xa0
	s_cselect_b32 s3, s9, s3
	s_xor_b32 s3, s3, s6
	s_sub_i32 s3, s3, s6
	s_load_dwordx4 s[20:23], s[4:5], 0x90
	s_load_dword s6, s[4:5], 0x7c
	s_waitcnt lgkmcnt(0)
	v_writelane_b32 v126, s12, 13
	v_writelane_b32 v126, s13, 14
	s_abs_i32 s1, s16
	v_cvt_f32_u32_e32 v3, s1
	v_writelane_b32 v126, s6, 15
	s_load_dwordx2 s[6:7], s[4:5], 0x1c
	s_load_dwordx2 s[10:11], s[4:5], 0x30
	s_mul_i32 s0, s0, s2
	v_rcp_iflag_f32_e32 v3, v3
	s_abs_i32 s2, s15
	v_cvt_f32_u32_e32 v4, s2
	s_waitcnt lgkmcnt(0)
	v_writelane_b32 v126, s10, 16
	v_writelane_b32 v126, s11, 17
	s_load_dwordx2 s[10:11], s[4:5], 0x60
	v_mul_f32_e32 v3, 0x4f7ffffe, v3
	v_cvt_u32_f32_e32 v3, v3
	v_rcp_iflag_f32_e32 v4, v4
                                        ; kill: killed $sgpr4 killed $sgpr5
	s_mov_b64 s[4:5], 0
	s_waitcnt lgkmcnt(0)
	v_writelane_b32 v126, s10, 18
	v_writelane_b32 v126, s11, 19
	;; [unrolled: 1-line block ×7, first 2 shown]
	s_ashr_i32 s0, s16, 31
	v_writelane_b32 v126, s0, 25
	s_sub_i32 s0, 0, s1
	v_mul_lo_u32 v5, s0, v3
	v_mul_hi_u32 v5, v3, v5
	v_writelane_b32 v126, s1, 26
	v_add_u32_e32 v3, v3, v5
	s_abs_i32 s1, s14
	buffer_store_dword v3, off, s[96:99], 0 ; 4-byte Folded Spill
	v_cvt_f32_u32_e32 v3, s1
	v_mul_f32_e32 v4, 0x4f7ffffe, v4
	v_cvt_u32_f32_e32 v4, v4
	s_ashr_i32 s0, s15, 31
	v_rcp_iflag_f32_e32 v3, v3
	v_writelane_b32 v126, s0, 27
	s_sub_i32 s0, 0, s2
	v_mul_lo_u32 v5, s0, v4
	v_mul_f32_e32 v3, 0x4f7ffffe, v3
	v_cvt_u32_f32_e32 v3, v3
	v_writelane_b32 v126, s2, 28
	v_mul_hi_u32 v5, v4, v5
	s_ashr_i32 s0, s14, 31
	v_add_u32_e32 v4, v4, v5
	v_writelane_b32 v126, s0, 29
	s_sub_i32 s0, 0, s1
	buffer_store_dword v4, off, s[96:99], 0 offset:4 ; 4-byte Folded Spill
	v_mul_lo_u32 v4, s0, v3
	s_abs_i32 s0, s20
	v_cvt_f32_u32_e32 v5, s0
	v_mul_hi_u32 v4, v3, v4
	v_add_u32_e32 v3, v3, v4
	buffer_store_dword v3, off, s[96:99], 0 offset:8 ; 4-byte Folded Spill
	v_rcp_iflag_f32_e32 v4, v5
	v_mul_lo_u32 v3, s8, v2
	v_mul_hi_u32 v3, v2, v3
	v_add_u32_e32 v2, v2, v3
	buffer_store_dword v2, off, s[96:99], 0 offset:12 ; 4-byte Folded Spill
	v_mul_f32_e32 v2, 0x4f7ffffe, v4
	v_writelane_b32 v126, s1, 30
	s_ashr_i32 s1, s20, 31
	v_cvt_u32_f32_e32 v2, v2
	v_writelane_b32 v126, s1, 31
	s_abs_i32 s1, s21
	v_cvt_f32_u32_e32 v3, s1
	v_writelane_b32 v126, s0, 32
	s_sub_i32 s0, 0, s0
	v_mul_lo_u32 v4, s0, v2
	v_mul_hi_u32 v4, v2, v4
	v_rcp_iflag_f32_e32 v3, v3
	v_add_u32_e32 v2, v2, v4
	s_abs_i32 s2, s22
	buffer_store_dword v2, off, s[96:99], 0 offset:16 ; 4-byte Folded Spill
	v_cvt_f32_u32_e32 v2, s2
	s_ashr_i32 s0, s21, 31
	v_mul_f32_e32 v3, 0x4f7ffffe, v3
	v_writelane_b32 v126, s0, 33
	v_cvt_u32_f32_e32 v3, v3
	v_rcp_iflag_f32_e32 v2, v2
	v_writelane_b32 v126, s1, 34
	v_writelane_b32 v126, s20, 35
	;; [unrolled: 1-line block ×3, first 2 shown]
	s_sub_i32 s0, 0, s1
	v_writelane_b32 v126, s22, 37
	v_mul_lo_u32 v4, s0, v3
	v_mul_f32_e32 v2, 0x4f7ffffe, v2
	v_writelane_b32 v126, s23, 38
	s_ashr_i32 s0, s22, 31
	v_cvt_u32_f32_e32 v2, v2
	v_writelane_b32 v126, s0, 39
	v_writelane_b32 v126, s2, 40
	v_mul_hi_u32 v4, v3, v4
	v_writelane_b32 v126, s3, 41
	v_add_u32_e32 v3, v3, v4
	s_sub_i32 s0, 0, s2
	v_writelane_b32 v126, s6, 42
	buffer_store_dword v3, off, s[96:99], 0 offset:20 ; 4-byte Folded Spill
	v_mul_lo_u32 v3, s0, v2
	v_writelane_b32 v126, s7, 43
	s_mul_i32 s0, s7, s3
	v_writelane_b32 v126, s0, 44
	v_mul_hi_u32 v3, v2, v3
	v_writelane_b32 v126, s16, 45
	v_add_u32_e32 v66, v2, v3
	v_writelane_b32 v126, s17, 46
	s_branch .LBB28_3
.LBB28_2:                               ;   in Loop: Header=BB28_3 Depth=1
	v_readlane_b32 s0, v126, 49
	v_readlane_b32 s1, v126, 50
	s_or_b64 exec, exec, s[0:1]
	v_bfe_u32 v2, v75, 16, 1
	s_movk_i32 s0, 0x7fff
	v_add3_u32 v2, v75, v2, s0
	v_readlane_b32 s16, v126, 45
	v_lshrrev_b32_e32 v2, 16, v2
	v_cmp_o_f32_e32 vcc, v75, v75
	v_mov_b32_e32 v3, 0x7fc0
	v_readlane_b32 s17, v126, 46
	v_cndmask_b32_e32 v4, v3, v2, vcc
	v_mul_lo_u32 v2, v72, s17
	v_ashrrev_i32_e32 v3, 31, v2
	v_readlane_b32 s0, v126, 16
	v_lshlrev_b64 v[2:3], 1, v[2:3]
	v_readlane_b32 s1, v126, 17
	v_mov_b32_e32 v5, s1
	v_add_co_u32_e32 v6, vcc, s0, v2
	v_readlane_b32 s0, v126, 20
	v_mul_lo_u32 v2, s0, v71
	v_addc_co_u32_e32 v5, vcc, v5, v3, vcc
	v_ashrrev_i32_e32 v3, 31, v2
	v_readlane_b32 s1, v126, 21
	v_lshlrev_b64 v[2:3], 1, v[2:3]
	v_add_co_u32_e32 v6, vcc, v6, v2
	v_mul_lo_u32 v2, s1, v70
	v_addc_co_u32_e32 v5, vcc, v5, v3, vcc
	v_ashrrev_i32_e32 v3, 31, v2
	v_readlane_b32 s2, v126, 22
	v_lshlrev_b64 v[2:3], 1, v[2:3]
	v_add_co_u32_e32 v6, vcc, v6, v2
	;; [unrolled: 6-line block ×3, first 2 shown]
	v_mul_lo_u32 v2, s3, v68
	v_addc_co_u32_e32 v5, vcc, v5, v3, vcc
	v_ashrrev_i32_e32 v3, 31, v2
	v_lshlrev_b64 v[2:3], 1, v[2:3]
	v_add_co_u32_e32 v2, vcc, v6, v2
	v_addc_co_u32_e32 v3, vcc, v5, v3, vcc
	v_readlane_b32 s0, v126, 24
	v_mov_b32_e32 v5, s75
	v_add_co_u32_e32 v0, vcc, s0, v0
	v_readlane_b32 s0, v126, 5
	v_readlane_b32 s4, v126, 47
	v_addc_co_u32_e32 v1, vcc, v1, v5, vcc
	v_readlane_b32 s1, v126, 6
	v_readlane_b32 s5, v126, 48
	v_cmp_le_i64_e32 vcc, s[0:1], v[0:1]
	s_or_b64 s[4:5], vcc, s[4:5]
	global_store_short v[2:3], v4, off
	s_andn2_b64 exec, exec, s[4:5]
	s_cbranch_execz .LBB28_60
.LBB28_3:                               ; =>This Loop Header: Depth=1
                                        ;     Child Loop BB28_6 Depth 2
	buffer_load_dword v4, off, s[96:99], 0  ; 4-byte Folded Reload
	v_writelane_b32 v126, s4, 47
	v_writelane_b32 v126, s5, 48
	v_sub_u32_e32 v3, 0, v0
	v_ashrrev_i32_e32 v2, 31, v0
	v_readlane_b32 s0, v126, 25
	v_max_i32_e32 v3, v0, v3
	v_xor_b32_e32 v2, s0, v2
	v_readlane_b32 s0, v126, 26
	v_mov_b32_e32 v75, 0
	s_waitcnt vmcnt(0)
	v_mul_hi_u32 v4, v3, v4
	v_mul_lo_u32 v5, v4, s0
	v_sub_u32_e32 v3, v3, v5
	v_add_u32_e32 v5, 1, v4
	v_cmp_le_u32_e32 vcc, s0, v3
	v_cndmask_b32_e32 v4, v4, v5, vcc
	v_subrev_u32_e32 v5, s0, v3
	v_cndmask_b32_e32 v3, v3, v5, vcc
	v_add_u32_e32 v5, 1, v4
	v_cmp_le_u32_e32 vcc, s0, v3
	v_cndmask_b32_e32 v3, v4, v5, vcc
	buffer_load_dword v5, off, s[96:99], 0 offset:4 ; 4-byte Folded Reload
	v_xor_b32_e32 v3, v3, v2
	v_sub_u32_e32 v2, v3, v2
	v_mul_lo_u32 v3, v2, s16
	v_sub_u32_e32 v4, 0, v2
	v_sub_u32_e32 v68, v0, v3
	v_ashrrev_i32_e32 v3, 31, v2
	v_readlane_b32 s0, v126, 27
	v_max_i32_e32 v4, v2, v4
	v_xor_b32_e32 v3, s0, v3
	v_readlane_b32 s0, v126, 28
	s_waitcnt vmcnt(0)
	v_mul_hi_u32 v5, v4, v5
	v_mul_lo_u32 v6, v5, s0
	v_sub_u32_e32 v4, v4, v6
	v_add_u32_e32 v6, 1, v5
	v_cmp_le_u32_e32 vcc, s0, v4
	v_cndmask_b32_e32 v5, v5, v6, vcc
	v_subrev_u32_e32 v6, s0, v4
	v_cndmask_b32_e32 v4, v4, v6, vcc
	v_add_u32_e32 v6, 1, v5
	v_cmp_le_u32_e32 vcc, s0, v4
	v_cndmask_b32_e32 v4, v5, v6, vcc
	buffer_load_dword v5, off, s[96:99], 0 offset:8 ; 4-byte Folded Reload
	v_xor_b32_e32 v4, v4, v3
	v_readlane_b32 s0, v126, 1
	v_sub_u32_e32 v3, v4, v3
	v_readlane_b32 s3, v126, 4
	v_mul_lo_u32 v4, v3, s3
	v_sub_u32_e32 v69, v2, v4
	v_sub_u32_e32 v4, 0, v3
	v_ashrrev_i32_e32 v2, 31, v3
	v_readlane_b32 s0, v126, 29
	v_max_i32_e32 v4, v3, v4
	v_xor_b32_e32 v2, s0, v2
	v_readlane_b32 s0, v126, 30
	v_readlane_b32 s2, v126, 3
	;; [unrolled: 1-line block ×3, first 2 shown]
	s_waitcnt vmcnt(0)
	v_mul_hi_u32 v5, v4, v5
	v_mul_lo_u32 v6, v5, s0
	v_sub_u32_e32 v4, v4, v6
	v_add_u32_e32 v6, 1, v5
	v_cmp_le_u32_e32 vcc, s0, v4
	v_cndmask_b32_e32 v5, v5, v6, vcc
	v_subrev_u32_e32 v6, s0, v4
	v_cndmask_b32_e32 v4, v4, v6, vcc
	v_add_u32_e32 v6, 1, v5
	v_cmp_le_u32_e32 vcc, s0, v4
	v_cndmask_b32_e32 v4, v5, v6, vcc
	buffer_load_dword v5, off, s[96:99], 0 offset:12 ; 4-byte Folded Reload
	v_xor_b32_e32 v4, v4, v2
	v_sub_u32_e32 v2, v4, v2
	v_mul_lo_u32 v4, v2, s2
	v_sub_u32_e32 v70, v3, v4
	v_sub_u32_e32 v4, 0, v2
	v_max_i32_e32 v4, v2, v4
	v_readlane_b32 s0, v126, 0
	v_ashrrev_i32_e32 v3, 31, v2
	v_xor_b32_e32 v3, s74, v3
	s_waitcnt vmcnt(0)
	v_mul_hi_u32 v5, v4, v5
	v_mul_lo_u32 v6, v5, s0
	v_sub_u32_e32 v4, v4, v6
	v_add_u32_e32 v6, 1, v5
	v_cmp_le_u32_e32 vcc, s0, v4
	v_cndmask_b32_e32 v5, v5, v6, vcc
	v_subrev_u32_e32 v6, s0, v4
	v_cndmask_b32_e32 v4, v4, v6, vcc
	v_add_u32_e32 v6, 1, v5
	v_cmp_le_u32_e32 vcc, s0, v4
	v_cndmask_b32_e32 v4, v5, v6, vcc
	v_xor_b32_e32 v4, v4, v3
	v_sub_u32_e32 v72, v4, v3
	v_mul_lo_u32 v3, v72, s1
	v_sub_u32_e32 v71, v2, v3
	v_readlane_b32 s0, v126, 41
	v_mul_lo_u32 v2, v71, s0
	v_add_u32_e32 v3, s0, v2
	v_cmp_lt_i32_e32 vcc, v2, v3
	s_mov_b64 s[0:1], exec
	v_writelane_b32 v126, s0, 49
	v_writelane_b32 v126, s1, 50
	s_and_b64 s[0:1], s[0:1], vcc
	s_mov_b64 exec, s[0:1]
	s_cbranch_execz .LBB28_2
; %bb.4:                                ;   in Loop: Header=BB28_3 Depth=1
	buffer_load_dword v19, off, s[96:99], 0 offset:16 ; 4-byte Folded Reload
	buffer_load_dword v14, off, s[96:99], 0 offset:20 ; 4-byte Folded Reload
	v_readlane_b32 s0, v126, 13
	v_add_u32_e32 v11, s0, v69
	v_readlane_b32 s0, v126, 15
	v_readlane_b32 s1, v126, 14
	v_mul_lo_u32 v2, s0, v2
	v_add_u32_e32 v5, s1, v68
	v_ashrrev_i32_e32 v3, 31, v2
	v_readlane_b32 s0, v126, 18
	v_lshlrev_b64 v[2:3], 1, v[2:3]
	v_readlane_b32 s1, v126, 19
	v_mov_b32_e32 v4, s1
	v_add_co_u32_e32 v2, vcc, s0, v2
	v_readlane_b32 s0, v126, 42
	v_readlane_b32 s40, v126, 35
	v_mul_lo_u32 v6, s0, v72
	v_readlane_b32 s43, v126, 38
	v_readlane_b32 s1, v126, 43
	v_ashrrev_i32_e32 v7, 31, v6
	v_add_u32_e32 v10, s43, v70
	v_addc_co_u32_e32 v3, vcc, v4, v3, vcc
	v_lshlrev_b64 v[6:7], 1, v[6:7]
	v_readlane_b32 s0, v126, 7
	v_readlane_b32 s1, v126, 8
	v_add_co_u32_e32 v73, vcc, s0, v6
	v_sub_u32_e32 v6, 0, v10
	v_mov_b32_e32 v4, s1
	v_max_i32_e32 v6, v10, v6
	v_addc_co_u32_e32 v74, vcc, v4, v7, vcc
	v_readlane_b32 s0, v126, 32
	v_ashrrev_i32_e32 v4, 31, v10
	v_readlane_b32 s20, v126, 31
	v_xor_b32_e32 v4, s20, v4
	v_readlane_b32 s1, v126, 34
	v_readlane_b32 s8, v126, 40
	v_add_u32_e32 v15, -2, v11
	v_readlane_b32 s4, v126, 33
	v_add_u32_e32 v17, -1, v11
	;; [unrolled: 2-line block ×3, first 2 shown]
	v_add_u32_e32 v20, -1, v10
	s_mov_b32 s33, s74
	v_readlane_b32 s72, v126, 9
	v_readlane_b32 s75, v126, 12
	;; [unrolled: 1-line block ×6, first 2 shown]
	v_sub_u32_e32 v25, 2, v5
                                        ; implicit-def: $vgpr127 : SGPR spill to VGPR lane
	v_mov_b32_e32 v75, 0
	s_waitcnt vmcnt(1)
	v_mul_hi_u32 v7, v6, v19
	v_mul_lo_u32 v8, v7, s0
	v_sub_u32_e32 v6, v6, v8
	v_add_u32_e32 v8, 1, v7
	v_cmp_le_u32_e32 vcc, s0, v6
	v_cndmask_b32_e32 v7, v7, v8, vcc
	v_subrev_u32_e32 v8, s0, v6
	v_cndmask_b32_e32 v6, v6, v8, vcc
	v_add_u32_e32 v8, 1, v7
	v_cmp_le_u32_e32 vcc, s0, v6
	v_cndmask_b32_e32 v6, v7, v8, vcc
	v_xor_b32_e32 v6, v6, v4
	v_sub_u32_e32 v7, v6, v4
	v_sub_u32_e32 v6, 0, v11
	v_max_i32_e32 v6, v11, v6
	s_waitcnt vmcnt(0)
	v_mul_hi_u32 v8, v6, v14
	v_mul_lo_u32 v9, v8, s1
	v_sub_u32_e32 v6, v6, v9
	v_add_u32_e32 v9, 1, v8
	v_cmp_le_u32_e32 vcc, s1, v6
	v_cndmask_b32_e32 v8, v8, v9, vcc
	v_subrev_u32_e32 v9, s1, v6
	v_cndmask_b32_e32 v6, v6, v9, vcc
	v_add_u32_e32 v9, 1, v8
	v_cmp_le_u32_e32 vcc, s1, v6
	v_cndmask_b32_e32 v6, v8, v9, vcc
	v_sub_u32_e32 v8, 0, v5
	v_max_i32_e32 v8, v5, v8
	v_mul_hi_u32 v9, v8, v66
	v_mul_lo_u32 v12, v9, s8
	v_sub_u32_e32 v8, v8, v12
	v_add_u32_e32 v12, 1, v9
	v_cmp_le_u32_e32 vcc, s8, v8
	v_cndmask_b32_e32 v9, v9, v12, vcc
	v_subrev_u32_e32 v12, s8, v8
	v_cndmask_b32_e32 v8, v8, v12, vcc
	v_add_u32_e32 v12, 1, v9
	v_cmp_le_u32_e32 vcc, s8, v8
	v_cndmask_b32_e32 v8, v9, v12, vcc
	v_sub_u32_e32 v9, 2, v11
	v_max_i32_e32 v9, v15, v9
	v_mul_hi_u32 v12, v9, v14
	v_mul_lo_u32 v13, v12, s1
	v_sub_u32_e32 v9, v9, v13
	v_add_u32_e32 v13, 1, v12
	v_cmp_le_u32_e32 vcc, s1, v9
	v_cndmask_b32_e32 v12, v12, v13, vcc
	v_subrev_u32_e32 v13, s1, v9
	v_cndmask_b32_e32 v9, v9, v13, vcc
	v_ashrrev_i32_e32 v4, 31, v11
	v_add_u32_e32 v13, 1, v12
	v_cmp_le_u32_e32 vcc, s1, v9
	v_xor_b32_e32 v4, s4, v4
	v_cndmask_b32_e32 v9, v12, v13, vcc
	v_sub_u32_e32 v12, 1, v11
	v_xor_b32_e32 v6, v6, v4
	v_max_i32_e32 v12, v17, v12
	v_sub_u32_e32 v4, v6, v4
	v_ashrrev_i32_e32 v6, 31, v5
	v_mul_hi_u32 v13, v12, v14
	v_xor_b32_e32 v6, s9, v6
	v_mul_lo_u32 v14, v13, s1
	v_xor_b32_e32 v8, v8, v6
	v_sub_u32_e32 v12, v12, v14
	v_sub_u32_e32 v6, v8, v6
	v_ashrrev_i32_e32 v8, 31, v15
	v_add_u32_e32 v14, 1, v13
	v_cmp_le_u32_e32 vcc, s1, v12
	v_xor_b32_e32 v8, s4, v8
	v_cndmask_b32_e32 v13, v13, v14, vcc
	v_subrev_u32_e32 v14, s1, v12
	v_xor_b32_e32 v9, v9, v8
	v_cndmask_b32_e32 v12, v12, v14, vcc
	v_sub_u32_e32 v8, v9, v8
	v_ashrrev_i32_e32 v9, 31, v17
	v_add_u32_e32 v14, 1, v13
	v_cmp_le_u32_e32 vcc, s1, v12
	v_xor_b32_e32 v9, s4, v9
	v_cndmask_b32_e32 v12, v13, v14, vcc
	v_xor_b32_e32 v12, v12, v9
	v_sub_u32_e32 v9, v12, v9
	v_sub_u32_e32 v12, 0, v18
	v_max_i32_e32 v12, v18, v12
	v_mul_hi_u32 v13, v12, v19
	v_mul_lo_u32 v14, v13, s0
	v_sub_u32_e32 v12, v12, v14
	v_add_u32_e32 v14, 1, v13
	v_cmp_le_u32_e32 vcc, s0, v12
	v_cndmask_b32_e32 v13, v13, v14, vcc
	v_subrev_u32_e32 v14, s0, v12
	v_cndmask_b32_e32 v12, v12, v14, vcc
	v_add_u32_e32 v14, 1, v13
	v_cmp_le_u32_e32 vcc, s0, v12
	v_cndmask_b32_e32 v26, v13, v14, vcc
	v_sub_u32_e32 v13, 0, v20
	v_max_i32_e32 v13, v20, v13
	v_mul_hi_u32 v14, v13, v19
	v_mul_lo_u32 v19, v14, s0
	v_sub_u32_e32 v13, v13, v19
	v_add_u32_e32 v19, 1, v14
	v_cmp_le_u32_e32 vcc, s0, v13
	v_cndmask_b32_e32 v14, v14, v19, vcc
	v_subrev_u32_e32 v19, s0, v13
	v_cndmask_b32_e32 v13, v13, v19, vcc
	v_ashrrev_i32_e32 v12, 31, v20
	v_add_u32_e32 v19, 1, v14
	v_cmp_le_u32_e32 vcc, s0, v13
	v_xor_b32_e32 v12, s20, v12
	v_cndmask_b32_e32 v13, v14, v19, vcc
	v_or_b32_e32 v24, v6, v4
	v_xor_b32_e32 v13, v13, v12
	v_sub_u32_e32 v13, v13, v12
	v_or_b32_e32 v12, v24, v7
	v_cmp_lt_i32_e64 s[0:1], -1, v12
	v_cmp_gt_i32_e32 vcc, s75, v6
	v_add_u32_e32 v19, -1, v5
	v_sub_u32_e32 v14, 1, v5
	v_cmp_gt_i32_e64 s[2:3], s74, v4
	s_and_b64 s[0:1], vcc, s[0:1]
	v_max_i32_e32 v14, v19, v14
	v_cmp_gt_i32_e64 s[6:7], s73, v7
	s_and_b64 s[0:1], s[0:1], s[2:3]
	v_mul_hi_u32 v21, v14, v66
	s_and_b64 s[0:1], s[0:1], s[6:7]
	v_mul_lo_u32 v23, v21, s8
	v_writelane_b32 v126, s0, 51
	v_sub_u32_e32 v14, v14, v23
	v_writelane_b32 v126, s1, 52
	v_add_u32_e32 v23, 1, v21
	v_cmp_le_u32_e64 s[0:1], s8, v14
	v_cndmask_b32_e64 v21, v21, v23, s[0:1]
	v_subrev_u32_e32 v23, s8, v14
	v_cndmask_b32_e64 v14, v14, v23, s[0:1]
	v_ashrrev_i32_e32 v12, 31, v19
	v_add_u32_e32 v23, 1, v21
	v_cmp_le_u32_e64 s[0:1], s8, v14
	v_xor_b32_e32 v12, s9, v12
	v_cndmask_b32_e64 v14, v21, v23, s[0:1]
	v_xor_b32_e32 v14, v14, v12
	v_sub_u32_e32 v12, v14, v12
	v_or_b32_e32 v28, v12, v4
	v_or_b32_e32 v14, v28, v7
	v_cmp_lt_i32_e64 s[4:5], -1, v14
	v_cmp_gt_i32_e64 s[0:1], s75, v12
	v_add_u32_e32 v21, -2, v5
	s_and_b64 s[4:5], s[0:1], s[4:5]
	v_max_i32_e32 v25, v21, v25
	s_and_b64 s[4:5], s[4:5], s[2:3]
	v_mul_hi_u32 v31, v25, v66
	s_and_b64 s[4:5], s[4:5], s[6:7]
	v_mul_lo_u32 v32, v31, s8
	v_writelane_b32 v126, s4, 53
	v_sub_u32_e32 v25, v25, v32
	v_writelane_b32 v126, s5, 54
	v_add_u32_e32 v32, 1, v31
	v_cmp_le_u32_e64 s[4:5], s8, v25
	v_cndmask_b32_e64 v31, v31, v32, s[4:5]
	v_subrev_u32_e32 v32, s8, v25
	v_cndmask_b32_e64 v25, v25, v32, s[4:5]
	v_ashrrev_i32_e32 v14, 31, v21
	v_add_u32_e32 v32, 1, v31
	v_cmp_le_u32_e64 s[4:5], s8, v25
	v_xor_b32_e32 v14, s9, v14
	v_cndmask_b32_e64 v25, v31, v32, s[4:5]
	v_xor_b32_e32 v25, v25, v14
	v_sub_u32_e32 v14, v25, v14
	v_or_b32_e32 v32, v14, v4
	v_or_b32_e32 v34, v32, v7
	v_cmp_lt_i32_e64 s[8:9], -1, v34
	v_cmp_gt_i32_e64 s[4:5], s75, v14
	s_and_b64 s[8:9], s[4:5], s[8:9]
	s_and_b64 s[8:9], s[8:9], s[2:3]
	v_or_b32_e32 v22, v6, v9
	s_and_b64 s[8:9], s[8:9], s[6:7]
	v_writelane_b32 v126, s8, 55
	v_or_b32_e32 v35, v22, v7
	v_writelane_b32 v126, s9, 56
	v_cmp_lt_i32_e64 s[8:9], -1, v35
	v_cmp_gt_i32_e64 s[10:11], s74, v9
	s_and_b64 s[8:9], vcc, s[8:9]
	s_and_b64 s[8:9], s[8:9], s[10:11]
	v_or_b32_e32 v27, v12, v9
	s_and_b64 s[8:9], s[8:9], s[6:7]
	v_writelane_b32 v126, s8, 57
	v_or_b32_e32 v36, v27, v7
	v_writelane_b32 v126, s9, 58
	v_cmp_lt_i32_e64 s[8:9], -1, v36
	s_and_b64 s[8:9], s[0:1], s[8:9]
	s_and_b64 s[8:9], s[8:9], s[10:11]
	v_or_b32_e32 v31, v14, v9
	s_and_b64 s[8:9], s[8:9], s[6:7]
	v_writelane_b32 v126, s8, 59
	v_or_b32_e32 v37, v31, v7
	v_writelane_b32 v126, s9, 60
	v_cmp_lt_i32_e64 s[8:9], -1, v37
	s_and_b64 s[8:9], s[4:5], s[8:9]
	v_or_b32_e32 v16, v6, v8
	s_and_b64 s[8:9], s[8:9], s[10:11]
	s_and_b64 s[8:9], s[8:9], s[6:7]
	v_or_b32_e32 v38, v16, v7
	v_writelane_b32 v126, s8, 61
	v_cmp_lt_i32_e64 s[12:13], -1, v38
	v_writelane_b32 v126, s9, 62
	v_cmp_gt_i32_e64 s[8:9], s74, v8
	s_and_b64 s[12:13], vcc, s[12:13]
	s_and_b64 s[12:13], s[12:13], s[8:9]
	v_or_b32_e32 v23, v12, v8
	s_and_b64 s[12:13], s[12:13], s[6:7]
	v_writelane_b32 v126, s12, 63
	v_or_b32_e32 v39, v23, v7
	v_writelane_b32 v127, s13, 0
	v_cmp_lt_i32_e64 s[12:13], -1, v39
	s_and_b64 s[12:13], s[0:1], s[12:13]
	s_and_b64 s[12:13], s[12:13], s[8:9]
	v_or_b32_e32 v25, v14, v8
	s_and_b64 s[12:13], s[12:13], s[6:7]
	v_writelane_b32 v127, s12, 1
	v_or_b32_e32 v40, v25, v7
	v_writelane_b32 v127, s13, 2
	v_cmp_lt_i32_e64 s[12:13], -1, v40
	s_and_b64 s[12:13], s[4:5], s[12:13]
	s_and_b64 s[12:13], s[12:13], s[8:9]
	v_or_b32_e32 v29, v24, v13
	s_and_b64 s[6:7], s[12:13], s[6:7]
	v_writelane_b32 v127, s6, 3
	v_cmp_lt_i32_e64 s[12:13], -1, v29
	s_and_b64 s[14:15], vcc, s[2:3]
	v_or_b32_e32 v30, v28, v13
	v_writelane_b32 v127, s7, 4
	v_cmp_gt_i32_e64 s[6:7], s73, v13
	s_and_b64 s[12:13], s[14:15], s[12:13]
	s_and_b64 s[56:57], s[12:13], s[6:7]
	v_cmp_lt_i32_e64 s[12:13], -1, v30
	s_and_b64 s[16:17], s[0:1], s[2:3]
	v_or_b32_e32 v33, v32, v13
	s_and_b64 s[12:13], s[16:17], s[12:13]
	s_and_b64 s[58:59], s[12:13], s[6:7]
	v_cmp_lt_i32_e64 s[12:13], -1, v33
	s_and_b64 s[18:19], s[4:5], s[2:3]
	v_or_b32_e32 v34, v22, v13
	s_and_b64 s[2:3], s[18:19], s[12:13]
	s_and_b64 s[68:69], s[2:3], s[6:7]
	v_cmp_lt_i32_e64 s[2:3], -1, v34
	s_and_b64 s[2:3], vcc, s[2:3]
	v_or_b32_e32 v35, v27, v13
	s_and_b64 s[2:3], s[2:3], s[10:11]
	s_and_b64 s[70:71], s[2:3], s[6:7]
	v_cmp_lt_i32_e64 s[2:3], -1, v35
	s_and_b64 s[2:3], s[0:1], s[2:3]
	v_or_b32_e32 v36, v31, v13
	s_and_b64 s[2:3], s[2:3], s[10:11]
	s_and_b64 s[64:65], s[2:3], s[6:7]
	v_cmp_lt_i32_e64 s[2:3], -1, v36
	s_and_b64 s[2:3], s[4:5], s[2:3]
	v_or_b32_e32 v37, v16, v13
	s_and_b64 s[2:3], s[2:3], s[10:11]
	s_and_b64 s[66:67], s[2:3], s[6:7]
	v_cmp_lt_i32_e64 s[2:3], -1, v37
	s_and_b64 s[2:3], vcc, s[2:3]
	v_or_b32_e32 v38, v23, v13
	s_and_b64 s[2:3], s[2:3], s[8:9]
	s_and_b64 s[88:89], s[2:3], s[6:7]
	v_cmp_lt_i32_e64 s[2:3], -1, v38
	s_and_b64 s[2:3], s[0:1], s[2:3]
	v_ashrrev_i32_e32 v29, 31, v18
	v_or_b32_e32 v39, v25, v13
	s_and_b64 s[2:3], s[2:3], s[8:9]
	v_xor_b32_e32 v29, s20, v29
	s_and_b64 s[60:61], s[2:3], s[6:7]
	v_cmp_lt_i32_e64 s[2:3], -1, v39
	v_xor_b32_e32 v26, v26, v29
	s_and_b64 s[2:3], s[4:5], s[2:3]
	v_sub_u32_e32 v50, v26, v29
	s_and_b64 s[2:3], s[2:3], s[8:9]
	v_or_b32_e32 v24, v24, v50
	s_and_b64 s[62:63], s[2:3], s[6:7]
	v_cmp_lt_i32_e64 s[2:3], -1, v24
	v_or_b32_e32 v24, v28, v50
	s_and_b64 s[14:15], s[14:15], s[2:3]
	v_cmp_lt_i32_e64 s[2:3], -1, v24
	;; [unrolled: 3-line block ×4, first 2 shown]
	v_or_b32_e32 v24, v27, v50
	s_and_b64 s[2:3], vcc, s[2:3]
	s_and_b64 s[20:21], s[2:3], s[10:11]
	v_cmp_lt_i32_e64 s[2:3], -1, v24
	v_or_b32_e32 v26, v31, v50
	s_and_b64 s[2:3], s[0:1], s[2:3]
	s_and_b64 s[22:23], s[2:3], s[10:11]
	v_cmp_lt_i32_e64 s[2:3], -1, v26
	s_and_b64 s[2:3], s[4:5], s[2:3]
	v_mul_lo_u32 v22, v7, s40
	v_mul_lo_u32 v24, v4, s41
	;; [unrolled: 1-line block ×4, first 2 shown]
	s_and_b64 s[24:25], s[2:3], s[10:11]
	v_cmp_eq_u32_e64 s[2:3], v22, v10
	v_cmp_eq_u32_e64 s[6:7], v24, v11
	;; [unrolled: 1-line block ×4, first 2 shown]
	v_mul_lo_u32 v10, v13, s40
	s_and_b64 s[26:27], s[2:3], s[6:7]
	s_and_b64 s[28:29], s[2:3], s[10:11]
	;; [unrolled: 1-line block ×3, first 2 shown]
	v_cmp_eq_u32_e64 s[2:3], v10, v20
	v_mul_lo_u32 v10, v50, s40
	s_and_b64 s[34:35], s[2:3], s[6:7]
	s_and_b64 s[36:37], s[2:3], s[10:11]
	;; [unrolled: 1-line block ×3, first 2 shown]
	v_cmp_eq_u32_e64 s[2:3], v10, v18
	v_or_b32_e32 v10, v16, v50
	s_and_b64 s[40:41], s[2:3], s[6:7]
	s_and_b64 s[46:47], s[2:3], s[10:11]
	;; [unrolled: 1-line block ×3, first 2 shown]
	v_cmp_lt_i32_e64 s[2:3], -1, v10
	v_or_b32_e32 v10, v23, v50
	s_and_b64 s[2:3], vcc, s[2:3]
	v_cmp_lt_i32_e32 vcc, -1, v10
	v_or_b32_e32 v10, v25, v50
	s_and_b64 s[0:1], s[0:1], vcc
	v_cmp_lt_i32_e32 vcc, -1, v10
	v_mul_lo_u32 v10, v6, s42
	v_cmp_eq_u32_e64 s[48:49], v10, v5
	v_mul_lo_u32 v5, v7, s74
	v_add_u32_e32 v7, v4, v5
	v_mul_lo_u32 v7, v7, s75
	v_add_u32_e32 v10, v6, v7
	v_add_u32_e32 v16, v12, v7
	v_add_u32_e32 v18, v14, v7
	v_add_u32_e32 v7, v9, v5
	v_add_u32_e32 v5, v8, v5
	v_mul_lo_u32 v5, v5, s75
	v_mul_lo_u32 v7, v7, s75
	v_add_u32_e32 v26, v6, v5
	v_add_u32_e32 v28, v12, v5
	;; [unrolled: 1-line block ×3, first 2 shown]
	v_mul_lo_u32 v5, v13, s74
	v_add_u32_e32 v20, v6, v7
	v_add_u32_e32 v22, v12, v7
	;; [unrolled: 1-line block ×4, first 2 shown]
	v_mul_lo_u32 v7, v7, s75
	v_add_u32_e32 v32, v6, v7
	v_add_u32_e32 v34, v12, v7
	;; [unrolled: 1-line block ×5, first 2 shown]
	v_mul_lo_u32 v5, v5, s75
	v_add_u32_e32 v44, v6, v5
	v_add_u32_e32 v46, v12, v5
	;; [unrolled: 1-line block ×3, first 2 shown]
	v_mul_lo_u32 v5, v50, s74
	v_add_u32_e32 v4, v4, v5
	v_mul_lo_u32 v4, v4, s75
	s_and_b64 s[4:5], s[4:5], vcc
	v_cmp_gt_i32_e32 vcc, s73, v50
	v_add_u32_e32 v50, v6, v4
	v_add_u32_e32 v52, v12, v4
	;; [unrolled: 1-line block ×4, first 2 shown]
	v_mul_lo_u32 v4, v4, s75
	v_add_u32_e32 v56, v6, v4
	v_add_u32_e32 v58, v12, v4
	;; [unrolled: 1-line block ×4, first 2 shown]
	v_mul_lo_u32 v7, v7, s75
	v_mul_lo_u32 v4, v4, s75
	;; [unrolled: 1-line block ×4, first 2 shown]
	v_add_u32_e32 v38, v6, v7
	v_add_u32_e32 v40, v12, v7
	;; [unrolled: 1-line block ×6, first 2 shown]
	s_and_b64 s[2:3], s[2:3], s[8:9]
	s_and_b64 s[0:1], s[0:1], s[8:9]
	;; [unrolled: 1-line block ×3, first 2 shown]
	v_cmp_eq_u32_e64 s[50:51], v11, v19
	v_cmp_eq_u32_e64 s[52:53], v15, v21
	v_ashrrev_i32_e32 v11, 31, v10
	v_ashrrev_i32_e32 v17, 31, v16
	;; [unrolled: 1-line block ×18, first 2 shown]
	s_mov_b32 s74, s33
	v_ashrrev_i32_e32 v51, 31, v50
	v_ashrrev_i32_e32 v53, 31, v52
	;; [unrolled: 1-line block ×9, first 2 shown]
	v_readlane_b32 s33, v126, 44
	s_and_b64 s[86:87], s[14:15], vcc
	s_and_b64 s[80:81], s[16:17], vcc
	;; [unrolled: 1-line block ×9, first 2 shown]
	s_and_b64 vcc, s[26:27], s[48:49]
	s_and_b64 s[0:1], s[26:27], s[50:51]
	s_and_b64 s[2:3], s[26:27], s[52:53]
	s_and_b64 s[4:5], s[28:29], s[48:49]
	s_and_b64 s[6:7], s[28:29], s[50:51]
	s_and_b64 s[8:9], s[28:29], s[52:53]
	s_and_b64 s[10:11], s[30:31], s[48:49]
	s_and_b64 s[12:13], s[30:31], s[50:51]
	s_and_b64 s[14:15], s[30:31], s[52:53]
	s_and_b64 s[16:17], s[34:35], s[48:49]
	s_and_b64 s[18:19], s[34:35], s[50:51]
	s_and_b64 s[20:21], s[34:35], s[52:53]
	s_and_b64 s[22:23], s[36:37], s[48:49]
	s_and_b64 s[24:25], s[36:37], s[50:51]
	s_and_b64 s[26:27], s[36:37], s[52:53]
	s_and_b64 s[28:29], s[38:39], s[48:49]
	s_and_b64 s[30:31], s[38:39], s[50:51]
	s_and_b64 s[34:35], s[38:39], s[52:53]
	s_and_b64 s[36:37], s[40:41], s[48:49]
	s_and_b64 s[38:39], s[40:41], s[50:51]
	s_and_b64 s[40:41], s[40:41], s[52:53]
	s_and_b64 s[42:43], s[46:47], s[48:49]
	s_and_b64 s[44:45], s[46:47], s[50:51]
	s_and_b64 s[46:47], s[46:47], s[52:53]
	s_and_b64 s[48:49], s[54:55], s[48:49]
	s_and_b64 s[50:51], s[54:55], s[50:51]
	s_and_b64 s[52:53], s[54:55], s[52:53]
	s_mov_b32 s75, 0
	v_mul_lo_u32 v4, s33, v71
	v_lshlrev_b64 v[6:7], 1, v[10:11]
	v_lshlrev_b64 v[8:9], 1, v[16:17]
	;; [unrolled: 1-line block ×27, first 2 shown]
	v_readlane_b32 s33, v126, 41
	s_branch .LBB28_6
.LBB28_5:                               ;   in Loop: Header=BB28_6 Depth=2
	s_or_b64 exec, exec, s[72:73]
	s_waitcnt vmcnt(26)
	v_lshlrev_b32_e32 v64, 16, v76
	v_fma_f32 v5, v5, v64, v75
	v_cndmask_b32_e32 v5, v75, v5, vcc
	s_waitcnt vmcnt(25)
	v_lshlrev_b32_e32 v64, 16, v79
	v_fma_f32 v64, v81, v64, v5
	v_cndmask_b32_e64 v5, v5, v64, s[0:1]
	s_waitcnt vmcnt(24)
	v_lshlrev_b32_e32 v64, 16, v82
	v_fma_f32 v64, v80, v64, v5
	v_cndmask_b32_e64 v5, v5, v64, s[2:3]
	;; [unrolled: 4-line block ×24, first 2 shown]
	s_waitcnt vmcnt(1)
	v_lshlrev_b32_e32 v60, 16, v61
	v_add_co_u32_e64 v2, s[54:55], 54, v2
	v_fma_f32 v60, v63, v60, v5
	v_addc_co_u32_e64 v3, s[54:55], 0, v3, s[54:55]
	v_cndmask_b32_e64 v5, v5, v60, s[50:51]
	s_waitcnt vmcnt(0)
	v_lshlrev_b32_e32 v60, 16, v67
	v_readlane_b32 s54, v126, 42
	v_fma_f32 v60, v62, v60, v5
	s_add_i32 s33, s33, -1
	v_readlane_b32 s55, v126, 43
	v_cndmask_b32_e64 v75, v5, v60, s[52:53]
	s_cmp_eq_u32 s33, 0
	v_add_u32_e32 v4, s55, v4
	s_cbranch_scc1 .LBB28_2
.LBB28_6:                               ;   Parent Loop BB28_3 Depth=1
                                        ; =>  This Inner Loop Header: Depth=2
	global_load_ushort v76, v[2:3], off
	v_ashrrev_i32_e32 v5, 31, v4
	v_lshlrev_b64 v[60:61], 1, v[4:5]
	v_add_co_u32_e64 v77, s[54:55], v73, v60
	v_addc_co_u32_e64 v78, s[54:55], v74, v61, s[54:55]
	v_mov_b32_e32 v5, 0
	s_mov_b64 s[72:73], exec
	v_readlane_b32 s54, v126, 51
	v_readlane_b32 s55, v126, 52
	s_and_b64 s[54:55], s[72:73], s[54:55]
	s_mov_b64 exec, s[54:55]
	s_cbranch_execz .LBB28_8
; %bb.7:                                ;   in Loop: Header=BB28_6 Depth=2
	v_add_co_u32_e64 v60, s[54:55], v77, v6
	v_addc_co_u32_e64 v61, s[54:55], v78, v7, s[54:55]
	global_load_ushort v5, v[60:61], off
	s_waitcnt vmcnt(0)
	v_lshlrev_b32_e32 v5, 16, v5
.LBB28_8:                               ;   in Loop: Header=BB28_6 Depth=2
	s_or_b64 exec, exec, s[72:73]
	global_load_ushort v79, v[2:3], off offset:2
	v_mov_b32_e32 v80, 0
	v_mov_b32_e32 v81, 0
	s_mov_b64 s[72:73], exec
	v_readlane_b32 s54, v126, 53
	v_readlane_b32 s55, v126, 54
	s_and_b64 s[54:55], s[72:73], s[54:55]
	s_mov_b64 exec, s[54:55]
	s_cbranch_execz .LBB28_10
; %bb.9:                                ;   in Loop: Header=BB28_6 Depth=2
	v_add_co_u32_e64 v60, s[54:55], v77, v8
	v_addc_co_u32_e64 v61, s[54:55], v78, v9, s[54:55]
	global_load_ushort v60, v[60:61], off
	s_waitcnt vmcnt(0)
	v_lshlrev_b32_e32 v81, 16, v60
.LBB28_10:                              ;   in Loop: Header=BB28_6 Depth=2
	s_or_b64 exec, exec, s[72:73]
	global_load_ushort v82, v[2:3], off offset:4
	s_mov_b64 s[72:73], exec
	v_readlane_b32 s54, v126, 55
	v_readlane_b32 s55, v126, 56
	s_and_b64 s[54:55], s[72:73], s[54:55]
	s_mov_b64 exec, s[54:55]
	s_cbranch_execz .LBB28_12
; %bb.11:                               ;   in Loop: Header=BB28_6 Depth=2
	v_add_co_u32_e64 v60, s[54:55], v77, v10
	v_addc_co_u32_e64 v61, s[54:55], v78, v11, s[54:55]
	global_load_ushort v60, v[60:61], off
	s_waitcnt vmcnt(0)
	v_lshlrev_b32_e32 v80, 16, v60
.LBB28_12:                              ;   in Loop: Header=BB28_6 Depth=2
	s_or_b64 exec, exec, s[72:73]
	global_load_ushort v83, v[2:3], off offset:6
	v_mov_b32_e32 v84, 0
	v_mov_b32_e32 v85, 0
	s_mov_b64 s[72:73], exec
	v_readlane_b32 s54, v126, 57
	v_readlane_b32 s55, v126, 58
	s_and_b64 s[54:55], s[72:73], s[54:55]
	s_mov_b64 exec, s[54:55]
	s_cbranch_execz .LBB28_14
; %bb.13:                               ;   in Loop: Header=BB28_6 Depth=2
	v_add_co_u32_e64 v60, s[54:55], v77, v12
	v_addc_co_u32_e64 v61, s[54:55], v78, v13, s[54:55]
	global_load_ushort v60, v[60:61], off
	s_waitcnt vmcnt(0)
	v_lshlrev_b32_e32 v85, 16, v60
.LBB28_14:                              ;   in Loop: Header=BB28_6 Depth=2
	s_or_b64 exec, exec, s[72:73]
	global_load_ushort v86, v[2:3], off offset:8
	s_mov_b64 s[72:73], exec
	v_readlane_b32 s54, v126, 59
	v_readlane_b32 s55, v126, 60
	s_and_b64 s[54:55], s[72:73], s[54:55]
	s_mov_b64 exec, s[54:55]
	s_cbranch_execz .LBB28_16
; %bb.15:                               ;   in Loop: Header=BB28_6 Depth=2
	v_add_co_u32_e64 v60, s[54:55], v77, v14
	v_addc_co_u32_e64 v61, s[54:55], v78, v15, s[54:55]
	global_load_ushort v60, v[60:61], off
	s_waitcnt vmcnt(0)
	v_lshlrev_b32_e32 v84, 16, v60
.LBB28_16:                              ;   in Loop: Header=BB28_6 Depth=2
	s_or_b64 exec, exec, s[72:73]
	global_load_ushort v87, v[2:3], off offset:10
	v_mov_b32_e32 v88, 0
	v_mov_b32_e32 v89, 0
	s_mov_b64 s[72:73], exec
	v_readlane_b32 s54, v126, 61
	v_readlane_b32 s55, v126, 62
	s_and_b64 s[54:55], s[72:73], s[54:55]
	s_mov_b64 exec, s[54:55]
	s_cbranch_execz .LBB28_18
; %bb.17:                               ;   in Loop: Header=BB28_6 Depth=2
	v_add_co_u32_e64 v60, s[54:55], v77, v16
	v_addc_co_u32_e64 v61, s[54:55], v78, v17, s[54:55]
	global_load_ushort v60, v[60:61], off
	s_waitcnt vmcnt(0)
	v_lshlrev_b32_e32 v89, 16, v60
.LBB28_18:                              ;   in Loop: Header=BB28_6 Depth=2
	;; [unrolled: 32-line block ×3, first 2 shown]
	s_or_b64 exec, exec, s[72:73]
	global_load_ushort v94, v[2:3], off offset:16
	s_mov_b64 s[72:73], exec
	v_readlane_b32 s54, v127, 3
	v_readlane_b32 s55, v127, 4
	s_and_b64 s[54:55], s[72:73], s[54:55]
	s_mov_b64 exec, s[54:55]
	s_cbranch_execz .LBB28_24
; %bb.23:                               ;   in Loop: Header=BB28_6 Depth=2
	v_add_co_u32_e64 v60, s[54:55], v77, v22
	v_addc_co_u32_e64 v61, s[54:55], v78, v23, s[54:55]
	global_load_ushort v60, v[60:61], off
	s_waitcnt vmcnt(0)
	v_lshlrev_b32_e32 v92, 16, v60
.LBB28_24:                              ;   in Loop: Header=BB28_6 Depth=2
	s_or_b64 exec, exec, s[72:73]
	global_load_ushort v95, v[2:3], off offset:18
	v_mov_b32_e32 v96, 0
	v_mov_b32_e32 v97, 0
	s_and_saveexec_b64 s[72:73], s[56:57]
	s_cbranch_execz .LBB28_26
; %bb.25:                               ;   in Loop: Header=BB28_6 Depth=2
	v_add_co_u32_e64 v60, s[54:55], v77, v24
	v_addc_co_u32_e64 v61, s[54:55], v78, v25, s[54:55]
	global_load_ushort v60, v[60:61], off
	s_waitcnt vmcnt(0)
	v_lshlrev_b32_e32 v97, 16, v60
.LBB28_26:                              ;   in Loop: Header=BB28_6 Depth=2
	s_or_b64 exec, exec, s[72:73]
	global_load_ushort v98, v[2:3], off offset:20
	s_and_saveexec_b64 s[72:73], s[58:59]
	s_cbranch_execz .LBB28_28
; %bb.27:                               ;   in Loop: Header=BB28_6 Depth=2
	v_add_co_u32_e64 v60, s[54:55], v77, v26
	v_addc_co_u32_e64 v61, s[54:55], v78, v27, s[54:55]
	global_load_ushort v60, v[60:61], off
	s_waitcnt vmcnt(0)
	v_lshlrev_b32_e32 v96, 16, v60
.LBB28_28:                              ;   in Loop: Header=BB28_6 Depth=2
	s_or_b64 exec, exec, s[72:73]
	global_load_ushort v99, v[2:3], off offset:22
	v_mov_b32_e32 v100, 0
	v_mov_b32_e32 v101, 0
	s_and_saveexec_b64 s[72:73], s[68:69]
	s_cbranch_execz .LBB28_30
; %bb.29:                               ;   in Loop: Header=BB28_6 Depth=2
	v_add_co_u32_e64 v60, s[54:55], v77, v28
	v_addc_co_u32_e64 v61, s[54:55], v78, v29, s[54:55]
	global_load_ushort v60, v[60:61], off
	s_waitcnt vmcnt(0)
	v_lshlrev_b32_e32 v101, 16, v60
.LBB28_30:                              ;   in Loop: Header=BB28_6 Depth=2
	s_or_b64 exec, exec, s[72:73]
	global_load_ushort v102, v[2:3], off offset:24
	s_and_saveexec_b64 s[72:73], s[70:71]
	;; [unrolled: 24-line block ×9, first 2 shown]
	s_cbranch_execz .LBB28_5
; %bb.59:                               ;   in Loop: Header=BB28_6 Depth=2
	v_add_co_u32_e64 v64, s[54:55], v77, v58
	v_addc_co_u32_e64 v65, s[54:55], v78, v59, s[54:55]
	global_load_ushort v62, v[64:65], off
	s_waitcnt vmcnt(0)
	v_lshlrev_b32_e32 v62, 16, v62
	s_branch .LBB28_5
.LBB28_60:
	s_endpgm
	.section	.rodata,"a",@progbits
	.p2align	6, 0x0
	.amdhsa_kernel _ZN2at6native12_GLOBAL__N_143conv_depthwise3d_cuda_backward_input_kernelIN3c108BFloat16EfLi3ELi3ELi3ELi1ELi1ELi1ELin1ELin1ELin1EEEvN5torch10headeronly6detail27GenericPackedTensorAccessorINS7_14TensorAccessorINS3_8ArrayRefIlEEKT_Lm4ENS6_16DefaultPtrTraitsEiEENS_6detail16IndexBoundsCheckILm5EiEESD_Lm5ESE_iEENS8_INS9_ISB_SC_Lm4ESE_iEESI_SC_Lm5ESE_iEESJ_iiiiiiiii
		.amdhsa_group_segment_fixed_size 0
		.amdhsa_private_segment_fixed_size 28
		.amdhsa_kernarg_size 440
		.amdhsa_user_sgpr_count 6
		.amdhsa_user_sgpr_private_segment_buffer 1
		.amdhsa_user_sgpr_dispatch_ptr 0
		.amdhsa_user_sgpr_queue_ptr 0
		.amdhsa_user_sgpr_kernarg_segment_ptr 1
		.amdhsa_user_sgpr_dispatch_id 0
		.amdhsa_user_sgpr_flat_scratch_init 0
		.amdhsa_user_sgpr_kernarg_preload_length 0
		.amdhsa_user_sgpr_kernarg_preload_offset 0
		.amdhsa_user_sgpr_private_segment_size 0
		.amdhsa_uses_dynamic_stack 0
		.amdhsa_system_sgpr_private_segment_wavefront_offset 1
		.amdhsa_system_sgpr_workgroup_id_x 1
		.amdhsa_system_sgpr_workgroup_id_y 0
		.amdhsa_system_sgpr_workgroup_id_z 0
		.amdhsa_system_sgpr_workgroup_info 0
		.amdhsa_system_vgpr_workitem_id 0
		.amdhsa_next_free_vgpr 128
		.amdhsa_next_free_sgpr 100
		.amdhsa_accum_offset 128
		.amdhsa_reserve_vcc 1
		.amdhsa_reserve_flat_scratch 0
		.amdhsa_float_round_mode_32 0
		.amdhsa_float_round_mode_16_64 0
		.amdhsa_float_denorm_mode_32 3
		.amdhsa_float_denorm_mode_16_64 3
		.amdhsa_dx10_clamp 1
		.amdhsa_ieee_mode 1
		.amdhsa_fp16_overflow 0
		.amdhsa_tg_split 0
		.amdhsa_exception_fp_ieee_invalid_op 0
		.amdhsa_exception_fp_denorm_src 0
		.amdhsa_exception_fp_ieee_div_zero 0
		.amdhsa_exception_fp_ieee_overflow 0
		.amdhsa_exception_fp_ieee_underflow 0
		.amdhsa_exception_fp_ieee_inexact 0
		.amdhsa_exception_int_div_zero 0
	.end_amdhsa_kernel
	.section	.text._ZN2at6native12_GLOBAL__N_143conv_depthwise3d_cuda_backward_input_kernelIN3c108BFloat16EfLi3ELi3ELi3ELi1ELi1ELi1ELin1ELin1ELin1EEEvN5torch10headeronly6detail27GenericPackedTensorAccessorINS7_14TensorAccessorINS3_8ArrayRefIlEEKT_Lm4ENS6_16DefaultPtrTraitsEiEENS_6detail16IndexBoundsCheckILm5EiEESD_Lm5ESE_iEENS8_INS9_ISB_SC_Lm4ESE_iEESI_SC_Lm5ESE_iEESJ_iiiiiiiii,"axG",@progbits,_ZN2at6native12_GLOBAL__N_143conv_depthwise3d_cuda_backward_input_kernelIN3c108BFloat16EfLi3ELi3ELi3ELi1ELi1ELi1ELin1ELin1ELin1EEEvN5torch10headeronly6detail27GenericPackedTensorAccessorINS7_14TensorAccessorINS3_8ArrayRefIlEEKT_Lm4ENS6_16DefaultPtrTraitsEiEENS_6detail16IndexBoundsCheckILm5EiEESD_Lm5ESE_iEENS8_INS9_ISB_SC_Lm4ESE_iEESI_SC_Lm5ESE_iEESJ_iiiiiiiii,comdat
.Lfunc_end28:
	.size	_ZN2at6native12_GLOBAL__N_143conv_depthwise3d_cuda_backward_input_kernelIN3c108BFloat16EfLi3ELi3ELi3ELi1ELi1ELi1ELin1ELin1ELin1EEEvN5torch10headeronly6detail27GenericPackedTensorAccessorINS7_14TensorAccessorINS3_8ArrayRefIlEEKT_Lm4ENS6_16DefaultPtrTraitsEiEENS_6detail16IndexBoundsCheckILm5EiEESD_Lm5ESE_iEENS8_INS9_ISB_SC_Lm4ESE_iEESI_SC_Lm5ESE_iEESJ_iiiiiiiii, .Lfunc_end28-_ZN2at6native12_GLOBAL__N_143conv_depthwise3d_cuda_backward_input_kernelIN3c108BFloat16EfLi3ELi3ELi3ELi1ELi1ELi1ELin1ELin1ELin1EEEvN5torch10headeronly6detail27GenericPackedTensorAccessorINS7_14TensorAccessorINS3_8ArrayRefIlEEKT_Lm4ENS6_16DefaultPtrTraitsEiEENS_6detail16IndexBoundsCheckILm5EiEESD_Lm5ESE_iEENS8_INS9_ISB_SC_Lm4ESE_iEESI_SC_Lm5ESE_iEESJ_iiiiiiiii
                                        ; -- End function
	.section	.AMDGPU.csdata,"",@progbits
; Kernel info:
; codeLenInByte = 7268
; NumSgprs: 104
; NumVgprs: 128
; NumAgprs: 0
; TotalNumVgprs: 128
; ScratchSize: 28
; MemoryBound: 0
; FloatMode: 240
; IeeeMode: 1
; LDSByteSize: 0 bytes/workgroup (compile time only)
; SGPRBlocks: 12
; VGPRBlocks: 15
; NumSGPRsForWavesPerEU: 104
; NumVGPRsForWavesPerEU: 128
; AccumOffset: 128
; Occupancy: 4
; WaveLimiterHint : 0
; COMPUTE_PGM_RSRC2:SCRATCH_EN: 1
; COMPUTE_PGM_RSRC2:USER_SGPR: 6
; COMPUTE_PGM_RSRC2:TRAP_HANDLER: 0
; COMPUTE_PGM_RSRC2:TGID_X_EN: 1
; COMPUTE_PGM_RSRC2:TGID_Y_EN: 0
; COMPUTE_PGM_RSRC2:TGID_Z_EN: 0
; COMPUTE_PGM_RSRC2:TIDIG_COMP_CNT: 0
; COMPUTE_PGM_RSRC3_GFX90A:ACCUM_OFFSET: 31
; COMPUTE_PGM_RSRC3_GFX90A:TG_SPLIT: 0
	.section	.text._ZN2at6native12_GLOBAL__N_143conv_depthwise3d_cuda_backward_input_kernelIN3c108BFloat16EfLi3ELi3ELi3ELin1ELin1ELin1ELi1ELi1ELi1EEEvN5torch10headeronly6detail27GenericPackedTensorAccessorINS7_14TensorAccessorINS3_8ArrayRefIlEEKT_Lm4ENS6_16DefaultPtrTraitsEiEENS_6detail16IndexBoundsCheckILm5EiEESD_Lm5ESE_iEENS8_INS9_ISB_SC_Lm4ESE_iEESI_SC_Lm5ESE_iEESJ_iiiiiiiii,"axG",@progbits,_ZN2at6native12_GLOBAL__N_143conv_depthwise3d_cuda_backward_input_kernelIN3c108BFloat16EfLi3ELi3ELi3ELin1ELin1ELin1ELi1ELi1ELi1EEEvN5torch10headeronly6detail27GenericPackedTensorAccessorINS7_14TensorAccessorINS3_8ArrayRefIlEEKT_Lm4ENS6_16DefaultPtrTraitsEiEENS_6detail16IndexBoundsCheckILm5EiEESD_Lm5ESE_iEENS8_INS9_ISB_SC_Lm4ESE_iEESI_SC_Lm5ESE_iEESJ_iiiiiiiii,comdat
	.globl	_ZN2at6native12_GLOBAL__N_143conv_depthwise3d_cuda_backward_input_kernelIN3c108BFloat16EfLi3ELi3ELi3ELin1ELin1ELin1ELi1ELi1ELi1EEEvN5torch10headeronly6detail27GenericPackedTensorAccessorINS7_14TensorAccessorINS3_8ArrayRefIlEEKT_Lm4ENS6_16DefaultPtrTraitsEiEENS_6detail16IndexBoundsCheckILm5EiEESD_Lm5ESE_iEENS8_INS9_ISB_SC_Lm4ESE_iEESI_SC_Lm5ESE_iEESJ_iiiiiiiii ; -- Begin function _ZN2at6native12_GLOBAL__N_143conv_depthwise3d_cuda_backward_input_kernelIN3c108BFloat16EfLi3ELi3ELi3ELin1ELin1ELin1ELi1ELi1ELi1EEEvN5torch10headeronly6detail27GenericPackedTensorAccessorINS7_14TensorAccessorINS3_8ArrayRefIlEEKT_Lm4ENS6_16DefaultPtrTraitsEiEENS_6detail16IndexBoundsCheckILm5EiEESD_Lm5ESE_iEENS8_INS9_ISB_SC_Lm4ESE_iEESI_SC_Lm5ESE_iEESJ_iiiiiiiii
	.p2align	8
	.type	_ZN2at6native12_GLOBAL__N_143conv_depthwise3d_cuda_backward_input_kernelIN3c108BFloat16EfLi3ELi3ELi3ELin1ELin1ELin1ELi1ELi1ELi1EEEvN5torch10headeronly6detail27GenericPackedTensorAccessorINS7_14TensorAccessorINS3_8ArrayRefIlEEKT_Lm4ENS6_16DefaultPtrTraitsEiEENS_6detail16IndexBoundsCheckILm5EiEESD_Lm5ESE_iEENS8_INS9_ISB_SC_Lm4ESE_iEESI_SC_Lm5ESE_iEESJ_iiiiiiiii,@function
_ZN2at6native12_GLOBAL__N_143conv_depthwise3d_cuda_backward_input_kernelIN3c108BFloat16EfLi3ELi3ELi3ELin1ELin1ELin1ELi1ELi1ELi1EEEvN5torch10headeronly6detail27GenericPackedTensorAccessorINS7_14TensorAccessorINS3_8ArrayRefIlEEKT_Lm4ENS6_16DefaultPtrTraitsEiEENS_6detail16IndexBoundsCheckILm5EiEESD_Lm5ESE_iEENS8_INS9_ISB_SC_Lm4ESE_iEESI_SC_Lm5ESE_iEESJ_iiiiiiiii: ; @_ZN2at6native12_GLOBAL__N_143conv_depthwise3d_cuda_backward_input_kernelIN3c108BFloat16EfLi3ELi3ELi3ELin1ELin1ELin1ELi1ELi1ELi1EEEvN5torch10headeronly6detail27GenericPackedTensorAccessorINS7_14TensorAccessorINS3_8ArrayRefIlEEKT_Lm4ENS6_16DefaultPtrTraitsEiEENS_6detail16IndexBoundsCheckILm5EiEESD_Lm5ESE_iEENS8_INS9_ISB_SC_Lm4ESE_iEESI_SC_Lm5ESE_iEESJ_iiiiiiiii
; %bb.0:
	s_load_dwordx4 s[16:19], s[4:5], 0x38
	s_load_dwordx2 s[26:27], s[4:5], 0x48
	s_mov_b64 s[98:99], s[2:3]
	s_mov_b64 s[96:97], s[0:1]
	s_add_u32 s96, s96, s7
	s_addc_u32 s97, s97, 0
	s_waitcnt lgkmcnt(0)
	s_abs_i32 s33, s17
	v_cvt_f32_u32_e32 v2, s33
	s_load_dword s2, s[4:5], 0xc4
	s_add_u32 s0, s4, 0xb8
	v_mov_b32_e32 v1, 0
	v_rcp_iflag_f32_e32 v2, v2
	v_mov_b32_e32 v3, s6
	s_mul_i32 s34, s27, s16
	s_addc_u32 s1, s5, 0
	v_mul_f32_e32 v2, 0x4f7ffffe, v2
	v_cvt_u32_f32_e32 v2, v2
	s_waitcnt lgkmcnt(0)
	s_and_b32 s2, s2, 0xffff
	s_ashr_i32 s35, s34, 31
	v_mad_u64_u32 v[0:1], s[6:7], s2, v3, v[0:1]
	v_readfirstlane_b32 s3, v2
	v_cmp_gt_i64_e32 vcc, s[34:35], v[0:1]
	s_and_saveexec_b64 s[6:7], vcc
	s_cbranch_execz .LBB29_60
; %bb.1:
	s_load_dwordx4 s[20:23], s[4:5], 0xc
	s_load_dwordx2 s[6:7], s[4:5], 0x0
	s_sub_i32 s8, 0, s33
                                        ; implicit-def: $vgpr127 : SGPR spill to VGPR lane
	s_mul_i32 s9, s8, s3
	s_mul_hi_u32 s9, s3, s9
	s_add_i32 s3, s3, s9
	s_waitcnt lgkmcnt(0)
	v_writelane_b32 v127, s6, 0
	v_writelane_b32 v127, s7, 1
	s_abs_i32 s7, s20
	s_mul_hi_u32 s3, s7, s3
	s_mul_i32 s9, s3, s33
	s_ashr_i32 s16, s17, 31
	s_ashr_i32 s6, s20, 31
	s_sub_i32 s7, s7, s9
	s_xor_b32 s6, s6, s16
	s_add_i32 s9, s3, 1
	s_sub_i32 s10, s7, s33
	s_cmp_ge_u32 s7, s33
	s_cselect_b32 s3, s9, s3
	s_cselect_b32 s7, s10, s7
	s_add_i32 s9, s3, 1
	s_cmp_ge_u32 s7, s33
	s_cselect_b32 s3, s9, s3
	s_xor_b32 s3, s3, s6
	s_sub_i32 s20, s3, s6
	s_load_dword s3, s[0:1], 0x0
	s_load_dwordx4 s[36:39], s[4:5], 0x9c
	s_load_dword s6, s[4:5], 0x7c
	s_abs_i32 s95, s26
                                        ; kill: killed $sgpr0 killed $sgpr1
	v_cvt_f32_u32_e32 v3, s95
	s_load_dwordx2 s[0:1], s[4:5], 0x60
	s_load_dwordx4 s[28:31], s[4:5], 0x50
	s_waitcnt lgkmcnt(0)
	v_writelane_b32 v127, s6, 2
	s_load_dwordx2 s[40:41], s[4:5], 0x1c
	s_load_dwordx2 s[6:7], s[4:5], 0x30
	;; [unrolled: 1-line block ×3, first 2 shown]
	v_rcp_iflag_f32_e32 v3, v3
	s_abs_i32 s94, s19
	v_cvt_f32_u32_e32 v4, s94
	s_waitcnt lgkmcnt(0)
	v_writelane_b32 v127, s6, 3
	v_writelane_b32 v127, s7, 4
	;; [unrolled: 1-line block ×4, first 2 shown]
	s_mul_i32 s0, s3, s2
	v_writelane_b32 v127, s0, 7
	s_lshl_b32 s0, s13, 1
	v_writelane_b32 v127, s0, 8
	v_mul_f32_e32 v3, 0x4f7ffffe, v3
	v_writelane_b32 v127, s12, 9
	v_cvt_u32_f32_e32 v3, v3
	v_writelane_b32 v127, s13, 10
	s_lshl_b32 s0, s12, 1
	v_writelane_b32 v127, s0, 11
	v_writelane_b32 v127, s36, 12
	s_sub_i32 s0, 0, s95
	v_writelane_b32 v127, s37, 13
	v_mul_lo_u32 v5, s0, v3
	v_writelane_b32 v127, s38, 14
	v_mul_hi_u32 v5, v3, v5
	v_writelane_b32 v127, s39, 15
	v_add_u32_e32 v3, v3, v5
	s_abs_i32 s36, s18
	buffer_store_dword v3, off, s[96:99], 0 ; 4-byte Folded Spill
	v_cvt_f32_u32_e32 v3, s36
	v_rcp_iflag_f32_e32 v4, v4
	s_sub_i32 s0, 0, s94
	s_mov_b32 s24, 0
	v_rcp_iflag_f32_e32 v3, v3
	v_mul_f32_e32 v4, 0x4f7ffffe, v4
	v_cvt_u32_f32_e32 v4, v4
	s_lshl_b32 s44, s39, 1
	v_mul_f32_e32 v3, 0x4f7ffffe, v3
	v_cvt_u32_f32_e32 v3, v3
	v_mul_lo_u32 v5, s0, v4
	v_mul_hi_u32 v5, v4, v5
	v_add_u32_e32 v4, v4, v5
	s_sub_i32 s0, 0, s36
	buffer_store_dword v4, off, s[96:99], 0 offset:4 ; 4-byte Folded Spill
	v_mul_lo_u32 v4, s0, v3
	v_mul_hi_u32 v4, v3, v4
	v_add_u32_e32 v62, v3, v4
	v_mul_lo_u32 v3, s8, v2
	v_mul_hi_u32 v3, v2, v3
	s_ashr_i32 s45, s26, 31
	s_ashr_i32 s38, s19, 31
	;; [unrolled: 1-line block ×3, first 2 shown]
	v_add_u32_e32 v63, v2, v3
	s_mov_b64 s[46:47], 0
	s_movk_i32 s37, 0x7fff
                                        ; kill: killed $sgpr4 killed $sgpr5
	s_branch .LBB29_3
.LBB29_2:                               ;   in Loop: Header=BB29_3 Depth=1
	s_or_b64 exec, exec, s[48:49]
	v_bfe_u32 v2, v71, 16, 1
	v_add3_u32 v2, v71, v2, s37
	v_lshrrev_b32_e32 v2, 16, v2
	v_cmp_o_f32_e32 vcc, v71, v71
	v_mov_b32_e32 v3, 0x7fc0
	v_cndmask_b32_e32 v4, v3, v2, vcc
	v_mul_lo_u32 v2, v68, s27
	v_ashrrev_i32_e32 v3, 31, v2
	v_readlane_b32 s0, v127, 3
	v_lshlrev_b64 v[2:3], 1, v[2:3]
	v_readlane_b32 s1, v127, 4
	v_mov_b32_e32 v5, s1
	v_add_co_u32_e32 v6, vcc, s0, v2
	v_mul_lo_u32 v2, s28, v67
	v_addc_co_u32_e32 v5, vcc, v5, v3, vcc
	v_ashrrev_i32_e32 v3, 31, v2
	v_lshlrev_b64 v[2:3], 1, v[2:3]
	v_add_co_u32_e32 v6, vcc, v6, v2
	v_mul_lo_u32 v2, s29, v66
	v_addc_co_u32_e32 v5, vcc, v5, v3, vcc
	v_ashrrev_i32_e32 v3, 31, v2
	v_lshlrev_b64 v[2:3], 1, v[2:3]
	;; [unrolled: 5-line block ×4, first 2 shown]
	v_add_co_u32_e32 v2, vcc, v6, v2
	v_addc_co_u32_e32 v3, vcc, v5, v3, vcc
	v_readlane_b32 s0, v127, 7
	v_mov_b32_e32 v5, s24
	v_add_co_u32_e32 v0, vcc, s0, v0
	v_addc_co_u32_e32 v1, vcc, v1, v5, vcc
	v_cmp_le_i64_e32 vcc, s[34:35], v[0:1]
	s_or_b64 s[46:47], vcc, s[46:47]
	global_store_short v[2:3], v4, off
	s_andn2_b64 exec, exec, s[46:47]
	s_cbranch_execz .LBB29_60
.LBB29_3:                               ; =>This Loop Header: Depth=1
                                        ;     Child Loop BB29_6 Depth 2
	buffer_load_dword v4, off, s[96:99], 0  ; 4-byte Folded Reload
	v_sub_u32_e32 v3, 0, v0
	v_max_i32_e32 v3, v0, v3
	v_ashrrev_i32_e32 v2, 31, v0
	v_xor_b32_e32 v2, s45, v2
	v_mov_b32_e32 v71, 0
	s_waitcnt vmcnt(0)
	v_mul_hi_u32 v4, v3, v4
	v_mul_lo_u32 v5, v4, s95
	v_sub_u32_e32 v3, v3, v5
	v_add_u32_e32 v5, 1, v4
	v_cmp_le_u32_e32 vcc, s95, v3
	v_cndmask_b32_e32 v4, v4, v5, vcc
	v_subrev_u32_e32 v5, s95, v3
	v_cndmask_b32_e32 v3, v3, v5, vcc
	v_add_u32_e32 v5, 1, v4
	v_cmp_le_u32_e32 vcc, s95, v3
	v_cndmask_b32_e32 v3, v4, v5, vcc
	buffer_load_dword v5, off, s[96:99], 0 offset:4 ; 4-byte Folded Reload
	v_xor_b32_e32 v3, v3, v2
	v_sub_u32_e32 v2, v3, v2
	v_sub_u32_e32 v4, 0, v2
	v_max_i32_e32 v4, v2, v4
	v_mul_lo_u32 v3, v2, s26
	v_sub_u32_e32 v64, v0, v3
	v_ashrrev_i32_e32 v3, 31, v2
	v_xor_b32_e32 v3, s38, v3
	s_waitcnt vmcnt(0)
	v_mul_hi_u32 v5, v4, v5
	v_mul_lo_u32 v6, v5, s94
	v_sub_u32_e32 v4, v4, v6
	v_add_u32_e32 v6, 1, v5
	v_cmp_le_u32_e32 vcc, s94, v4
	v_cndmask_b32_e32 v5, v5, v6, vcc
	v_subrev_u32_e32 v6, s94, v4
	v_cndmask_b32_e32 v4, v4, v6, vcc
	v_add_u32_e32 v6, 1, v5
	v_cmp_le_u32_e32 vcc, s94, v4
	v_cndmask_b32_e32 v4, v5, v6, vcc
	v_xor_b32_e32 v4, v4, v3
	v_sub_u32_e32 v3, v4, v3
	v_mul_lo_u32 v4, v3, s19
	v_sub_u32_e32 v65, v2, v4
	v_sub_u32_e32 v4, 0, v3
	v_max_i32_e32 v4, v3, v4
	v_mul_hi_u32 v5, v4, v62
	v_mul_lo_u32 v6, v5, s36
	v_sub_u32_e32 v4, v4, v6
	v_add_u32_e32 v6, 1, v5
	v_cmp_le_u32_e32 vcc, s36, v4
	v_cndmask_b32_e32 v5, v5, v6, vcc
	v_subrev_u32_e32 v6, s36, v4
	v_cndmask_b32_e32 v4, v4, v6, vcc
	v_ashrrev_i32_e32 v2, 31, v3
	v_add_u32_e32 v6, 1, v5
	v_cmp_le_u32_e32 vcc, s36, v4
	v_xor_b32_e32 v2, s39, v2
	v_cndmask_b32_e32 v4, v5, v6, vcc
	v_xor_b32_e32 v4, v4, v2
	v_sub_u32_e32 v2, v4, v2
	v_mul_lo_u32 v4, v2, s18
	v_sub_u32_e32 v66, v3, v4
	v_sub_u32_e32 v4, 0, v2
	v_max_i32_e32 v4, v2, v4
	v_mul_hi_u32 v5, v4, v63
	v_mul_lo_u32 v6, v5, s33
	v_sub_u32_e32 v4, v4, v6
	v_add_u32_e32 v6, 1, v5
	v_cmp_le_u32_e32 vcc, s33, v4
	v_cndmask_b32_e32 v5, v5, v6, vcc
	v_subrev_u32_e32 v6, s33, v4
	v_cndmask_b32_e32 v4, v4, v6, vcc
	v_ashrrev_i32_e32 v3, 31, v2
	v_add_u32_e32 v6, 1, v5
	v_cmp_le_u32_e32 vcc, s33, v4
	v_xor_b32_e32 v3, s16, v3
	v_cndmask_b32_e32 v4, v5, v6, vcc
	v_xor_b32_e32 v4, v4, v3
	v_sub_u32_e32 v68, v4, v3
	v_mul_lo_u32 v3, v68, s17
	v_sub_u32_e32 v67, v2, v3
	v_mul_lo_u32 v2, v67, s20
	v_add_u32_e32 v3, s20, v2
	v_cmp_lt_i32_e32 vcc, v2, v3
	s_and_saveexec_b64 s[48:49], vcc
	s_cbranch_execz .LBB29_2
; %bb.4:                                ;   in Loop: Header=BB29_3 Depth=1
	v_readlane_b32 s0, v127, 2
	v_mul_lo_u32 v2, s0, v2
	v_ashrrev_i32_e32 v3, 31, v2
	v_readlane_b32 s0, v127, 5
	v_lshlrev_b64 v[2:3], 1, v[2:3]
	v_readlane_b32 s1, v127, 6
	v_mov_b32_e32 v6, s1
	v_add_co_u32_e32 v2, vcc, s0, v2
	v_readlane_b32 s4, v127, 12
	v_addc_co_u32_e32 v3, vcc, v6, v3, vcc
	v_mul_lo_u32 v6, s40, v68
	v_readlane_b32 s5, v127, 13
	v_readlane_b32 s6, v127, 14
	v_ashrrev_i32_e32 v7, 31, v6
	v_readlane_b32 s0, v127, 0
	v_readlane_b32 s7, v127, 15
	v_add_u32_e32 v10, s4, v66
	v_add_u32_e32 v5, s5, v65
	;; [unrolled: 1-line block ×3, first 2 shown]
	v_lshlrev_b64 v[6:7], 1, v[6:7]
	v_readlane_b32 s1, v127, 1
	v_mov_b32_e32 v8, s1
	v_add_co_u32_e32 v69, vcc, s0, v6
	v_readlane_b32 s2, v127, 9
	v_or_b32_e32 v6, v4, v5
	v_subrev_u32_e32 v9, s44, v10
	v_subrev_u32_e32 v12, s7, v10
	v_addc_co_u32_e32 v70, vcc, v8, v7, vcc
	v_readlane_b32 s0, v127, 11
	v_readlane_b32 s3, v127, 10
	v_or_b32_e32 v15, v6, v9
	v_or_b32_e32 v16, v6, v12
	v_or_b32_e32 v6, v6, v10
	v_subrev_u32_e32 v8, s0, v5
	v_cmp_lt_i32_e64 s[0:1], -1, v6
	v_cmp_gt_i32_e32 vcc, s23, v4
	v_subrev_u32_e32 v6, s3, v4
	v_cmp_gt_i32_e64 s[8:9], s22, v5
	s_and_b64 s[0:1], vcc, s[0:1]
	v_or_b32_e32 v7, v6, v5
	v_cmp_gt_i32_e64 s[10:11], s21, v10
	s_and_b64 s[0:1], s[0:1], s[8:9]
	v_or_b32_e32 v19, v7, v9
	v_or_b32_e32 v20, v7, v12
	;; [unrolled: 1-line block ×3, first 2 shown]
	v_subrev_u32_e32 v11, s2, v5
	s_and_b64 s[50:51], s[0:1], s[10:11]
	v_cmp_lt_i32_e64 s[2:3], -1, v7
	v_cmp_gt_i32_e64 s[0:1], s23, v6
	s_and_b64 s[2:3], s[0:1], s[2:3]
	s_and_b64 s[2:3], s[2:3], s[8:9]
	;; [unrolled: 1-line block ×3, first 2 shown]
	v_readlane_b32 s2, v127, 8
	v_subrev_u32_e32 v7, s2, v4
	v_or_b32_e32 v23, v7, v5
	v_or_b32_e32 v24, v23, v9
	;; [unrolled: 1-line block ×5, first 2 shown]
	v_cmp_lt_i32_e64 s[4:5], -1, v23
	v_cmp_gt_i32_e64 s[2:3], s23, v7
	s_and_b64 s[4:5], s[2:3], s[4:5]
	v_or_b32_e32 v23, v14, v9
	v_or_b32_e32 v26, v14, v12
	;; [unrolled: 1-line block ×3, first 2 shown]
	s_and_b64 s[4:5], s[4:5], s[8:9]
	v_cmp_lt_i32_e64 s[6:7], -1, v14
	v_or_b32_e32 v18, v6, v11
	s_and_b64 s[54:55], s[4:5], s[10:11]
	v_cmp_gt_i32_e64 s[4:5], s22, v11
	s_and_b64 s[6:7], vcc, s[6:7]
	s_and_b64 s[6:7], s[6:7], s[4:5]
	v_or_b32_e32 v14, v18, v9
	v_or_b32_e32 v27, v18, v12
	;; [unrolled: 1-line block ×3, first 2 shown]
	s_and_b64 s[56:57], s[6:7], s[10:11]
	v_cmp_lt_i32_e64 s[6:7], -1, v18
	v_or_b32_e32 v22, v7, v11
	s_and_b64 s[6:7], s[0:1], s[6:7]
	s_and_b64 s[6:7], s[6:7], s[4:5]
	v_or_b32_e32 v18, v22, v9
	v_or_b32_e32 v28, v22, v12
	;; [unrolled: 1-line block ×4, first 2 shown]
	s_and_b64 s[58:59], s[6:7], s[10:11]
	v_cmp_lt_i32_e64 s[6:7], -1, v22
	s_and_b64 s[6:7], s[2:3], s[6:7]
	v_or_b32_e32 v29, v13, v10
	s_and_b64 s[6:7], s[6:7], s[4:5]
	v_cmp_lt_i32_e64 s[12:13], -1, v29
	v_or_b32_e32 v17, v6, v8
	s_and_b64 s[60:61], s[6:7], s[10:11]
	v_cmp_gt_i32_e64 s[6:7], s22, v8
	s_and_b64 s[12:13], vcc, s[12:13]
	s_and_b64 s[12:13], s[12:13], s[6:7]
	v_or_b32_e32 v30, v17, v10
	s_and_b64 s[62:63], s[12:13], s[10:11]
	v_cmp_lt_i32_e64 s[12:13], -1, v30
	v_or_b32_e32 v21, v7, v8
	s_and_b64 s[12:13], s[0:1], s[12:13]
	s_and_b64 s[12:13], s[12:13], s[6:7]
	v_or_b32_e32 v31, v21, v10
	s_and_b64 s[64:65], s[12:13], s[10:11]
	v_cmp_lt_i32_e64 s[12:13], -1, v31
	s_and_b64 s[12:13], s[2:3], s[12:13]
	s_and_b64 s[12:13], s[12:13], s[6:7]
	;; [unrolled: 1-line block ×3, first 2 shown]
	v_cmp_lt_i32_e64 s[12:13], -1, v16
	s_and_b64 s[82:83], vcc, s[8:9]
	v_cmp_gt_i32_e64 s[10:11], s21, v12
	s_and_b64 s[12:13], s[82:83], s[12:13]
	s_and_b64 s[68:69], s[12:13], s[10:11]
	v_cmp_lt_i32_e64 s[12:13], -1, v20
	s_and_b64 s[84:85], s[0:1], s[8:9]
	s_and_b64 s[12:13], s[84:85], s[12:13]
	;; [unrolled: 1-line block ×3, first 2 shown]
	v_cmp_lt_i32_e64 s[12:13], -1, v25
	s_and_b64 s[86:87], s[2:3], s[8:9]
	s_and_b64 s[8:9], s[86:87], s[12:13]
	;; [unrolled: 1-line block ×3, first 2 shown]
	v_cmp_lt_i32_e64 s[8:9], -1, v26
	s_and_b64 s[8:9], vcc, s[8:9]
	s_and_b64 s[8:9], s[8:9], s[4:5]
	s_and_b64 s[72:73], s[8:9], s[10:11]
	v_cmp_lt_i32_e64 s[8:9], -1, v27
	s_and_b64 s[8:9], s[0:1], s[8:9]
	s_and_b64 s[8:9], s[8:9], s[4:5]
	;; [unrolled: 1-line block ×3, first 2 shown]
	v_cmp_lt_i32_e64 s[8:9], -1, v28
	s_and_b64 s[8:9], s[2:3], s[8:9]
	v_or_b32_e32 v22, v13, v12
	s_and_b64 s[8:9], s[8:9], s[4:5]
	s_and_b64 s[76:77], s[8:9], s[10:11]
	v_cmp_lt_i32_e64 s[8:9], -1, v22
	s_and_b64 s[8:9], vcc, s[8:9]
	v_or_b32_e32 v29, v17, v12
	s_and_b64 s[8:9], s[8:9], s[6:7]
	s_and_b64 s[78:79], s[8:9], s[10:11]
	v_cmp_lt_i32_e64 s[8:9], -1, v29
	s_and_b64 s[8:9], s[0:1], s[8:9]
	v_or_b32_e32 v30, v21, v12
	s_and_b64 s[8:9], s[8:9], s[6:7]
	s_and_b64 s[80:81], s[8:9], s[10:11]
	v_cmp_lt_i32_e64 s[8:9], -1, v30
	s_and_b64 s[8:9], s[2:3], s[8:9]
	s_and_b64 s[8:9], s[8:9], s[6:7]
	;; [unrolled: 1-line block ×3, first 2 shown]
	v_cmp_lt_i32_e64 s[8:9], -1, v15
	s_and_b64 s[82:83], s[82:83], s[8:9]
	v_cmp_lt_i32_e64 s[8:9], -1, v19
	s_and_b64 s[84:85], s[84:85], s[8:9]
	;; [unrolled: 2-line block ×3, first 2 shown]
	v_cmp_lt_i32_e64 s[8:9], -1, v23
	s_and_b64 s[8:9], vcc, s[8:9]
	s_and_b64 s[88:89], s[8:9], s[4:5]
	v_cmp_lt_i32_e64 s[8:9], -1, v14
	s_and_b64 s[8:9], s[0:1], s[8:9]
	s_and_b64 s[90:91], s[8:9], s[4:5]
	v_cmp_lt_i32_e64 s[8:9], -1, v18
	s_and_b64 s[8:9], s[2:3], s[8:9]
	v_or_b32_e32 v13, v13, v9
	s_and_b64 s[92:93], s[8:9], s[4:5]
	v_cmp_lt_i32_e64 s[4:5], -1, v13
	v_or_b32_e32 v13, v17, v9
	s_and_b64 s[4:5], vcc, s[4:5]
	v_cmp_lt_i32_e32 vcc, -1, v13
	v_or_b32_e32 v13, v21, v9
	s_and_b64 s[0:1], s[0:1], vcc
	v_cmp_lt_i32_e32 vcc, -1, v13
	v_mul_lo_u32 v13, v10, s22
	v_add_u32_e32 v10, v5, v13
	v_mul_lo_u32 v15, v10, s23
	v_add_u32_e32 v10, v4, v15
	v_add_u32_e32 v14, v6, v15
	;; [unrolled: 1-line block ×5, first 2 shown]
	v_mul_lo_u32 v13, v13, s23
	v_mul_lo_u32 v12, v12, s22
	v_add_u32_e32 v24, v4, v13
	v_add_u32_e32 v26, v6, v13
	;; [unrolled: 1-line block ×4, first 2 shown]
	v_mul_lo_u32 v13, v13, s23
	v_add_u32_e32 v30, v4, v13
	v_add_u32_e32 v32, v6, v13
	;; [unrolled: 1-line block ×5, first 2 shown]
	v_mul_lo_u32 v12, v12, s23
	v_add_u32_e32 v42, v4, v12
	v_add_u32_e32 v44, v6, v12
	;; [unrolled: 1-line block ×3, first 2 shown]
	v_mul_lo_u32 v12, v9, s22
	v_add_u32_e32 v5, v5, v12
	v_mul_lo_u32 v5, v5, s23
	v_add_u32_e32 v48, v4, v5
	v_add_u32_e32 v50, v6, v5
	;; [unrolled: 1-line block ×5, first 2 shown]
	v_mul_lo_u32 v15, v15, s23
	v_mul_lo_u32 v13, v13, s23
	v_mul_lo_u32 v5, v5, s23
	v_mul_lo_u32 v8, v8, s23
	s_and_b64 s[2:3], s[2:3], vcc
	s_and_b64 s[14:15], s[0:1], s[6:7]
	v_add_u32_e32 v18, v4, v15
	v_add_u32_e32 v20, v6, v15
	;; [unrolled: 1-line block ×9, first 2 shown]
	v_cmp_gt_i32_e32 vcc, s21, v9
	v_add_u32_e32 v72, v4, v5
	v_add_u32_e32 v74, v6, v8
	;; [unrolled: 1-line block ×3, first 2 shown]
	s_and_b64 s[42:43], s[4:5], s[6:7]
	s_and_b64 s[24:25], s[2:3], s[6:7]
	v_ashrrev_i32_e32 v11, 31, v10
	v_ashrrev_i32_e32 v15, 31, v14
	;; [unrolled: 1-line block ×20, first 2 shown]
	s_and_b64 s[4:5], s[86:87], vcc
	v_ashrrev_i32_e32 v53, 31, v52
	v_ashrrev_i32_e32 v73, 31, v72
	;; [unrolled: 1-line block ×5, first 2 shown]
	s_and_b64 s[86:87], s[14:15], vcc
	v_ashrrev_i32_e32 v75, 31, v74
	v_ashrrev_i32_e32 v77, 31, v76
	s_mul_i32 s14, s41, s20
	s_and_b64 s[0:1], s[82:83], vcc
	s_and_b64 s[2:3], s[84:85], vcc
	;; [unrolled: 1-line block ×7, first 2 shown]
	s_mov_b32 s24, 0
	v_lshlrev_b64 v[4:5], 1, v[10:11]
	v_lshlrev_b64 v[6:7], 1, v[14:15]
	v_lshlrev_b64 v[8:9], 1, v[16:17]
	v_lshlrev_b64 v[10:11], 1, v[18:19]
	v_lshlrev_b64 v[12:13], 1, v[20:21]
	v_lshlrev_b64 v[14:15], 1, v[22:23]
	v_lshlrev_b64 v[16:17], 1, v[24:25]
	v_lshlrev_b64 v[18:19], 1, v[26:27]
	v_lshlrev_b64 v[20:21], 1, v[28:29]
	v_lshlrev_b64 v[22:23], 1, v[30:31]
	v_lshlrev_b64 v[24:25], 1, v[32:33]
	v_lshlrev_b64 v[26:27], 1, v[34:35]
	v_lshlrev_b64 v[28:29], 1, v[36:37]
	v_lshlrev_b64 v[30:31], 1, v[38:39]
	v_lshlrev_b64 v[32:33], 1, v[40:41]
	v_lshlrev_b64 v[34:35], 1, v[42:43]
	v_lshlrev_b64 v[36:37], 1, v[44:45]
	v_lshlrev_b64 v[38:39], 1, v[46:47]
	v_lshlrev_b64 v[40:41], 1, v[48:49]
	v_lshlrev_b64 v[42:43], 1, v[50:51]
	v_lshlrev_b64 v[44:45], 1, v[52:53]
	v_lshlrev_b64 v[46:47], 1, v[72:73]
	v_lshlrev_b64 v[48:49], 1, v[54:55]
	v_lshlrev_b64 v[50:51], 1, v[56:57]
	v_lshlrev_b64 v[52:53], 1, v[58:59]
	v_lshlrev_b64 v[54:55], 1, v[74:75]
	v_lshlrev_b64 v[56:57], 1, v[76:77]
	s_mov_b32 s92, s20
	v_mov_b32_e32 v71, 0
	v_mul_lo_u32 v58, s14, v67
	s_branch .LBB29_6
.LBB29_5:                               ;   in Loop: Header=BB29_6 Depth=2
	s_or_b64 exec, exec, s[90:91]
	s_waitcnt vmcnt(26)
	v_lshlrev_b32_e32 v60, 16, v72
	v_fmac_f32_e32 v71, v59, v60
	s_waitcnt vmcnt(25)
	v_lshlrev_b32_e32 v59, 16, v75
	v_fmac_f32_e32 v71, v77, v59
	;; [unrolled: 3-line block ×26, first 2 shown]
	s_waitcnt vmcnt(0)
	v_lshlrev_b32_e32 v59, 16, v126
	v_add_co_u32_e32 v2, vcc, 54, v2
	s_add_i32 s92, s92, -1
	v_fmac_f32_e32 v71, v124, v59
	v_addc_co_u32_e32 v3, vcc, 0, v3, vcc
	s_cmp_eq_u32 s92, 0
	v_add_u32_e32 v58, s41, v58
	s_cbranch_scc1 .LBB29_2
.LBB29_6:                               ;   Parent Loop BB29_3 Depth=1
                                        ; =>  This Inner Loop Header: Depth=2
	global_load_ushort v72, v[2:3], off
	v_ashrrev_i32_e32 v59, 31, v58
	v_lshlrev_b64 v[74:75], 1, v[58:59]
	v_add_co_u32_e32 v73, vcc, v69, v74
	v_addc_co_u32_e32 v74, vcc, v70, v75, vcc
	v_mov_b32_e32 v59, 0
	s_and_saveexec_b64 s[90:91], s[50:51]
	s_cbranch_execz .LBB29_8
; %bb.7:                                ;   in Loop: Header=BB29_6 Depth=2
	v_add_co_u32_e32 v76, vcc, v73, v4
	v_addc_co_u32_e32 v77, vcc, v74, v5, vcc
	global_load_ushort v59, v[76:77], off
	s_waitcnt vmcnt(0)
	v_lshlrev_b32_e32 v59, 16, v59
.LBB29_8:                               ;   in Loop: Header=BB29_6 Depth=2
	s_or_b64 exec, exec, s[90:91]
	global_load_ushort v75, v[2:3], off offset:2
	v_mov_b32_e32 v76, 0
	v_mov_b32_e32 v77, 0
	s_and_saveexec_b64 s[90:91], s[52:53]
	s_cbranch_execz .LBB29_10
; %bb.9:                                ;   in Loop: Header=BB29_6 Depth=2
	v_add_co_u32_e32 v78, vcc, v73, v6
	v_addc_co_u32_e32 v79, vcc, v74, v7, vcc
	global_load_ushort v60, v[78:79], off
	s_waitcnt vmcnt(0)
	v_lshlrev_b32_e32 v77, 16, v60
.LBB29_10:                              ;   in Loop: Header=BB29_6 Depth=2
	s_or_b64 exec, exec, s[90:91]
	global_load_ushort v78, v[2:3], off offset:4
	s_and_saveexec_b64 s[90:91], s[54:55]
	s_cbranch_execz .LBB29_12
; %bb.11:                               ;   in Loop: Header=BB29_6 Depth=2
	v_add_co_u32_e32 v80, vcc, v73, v8
	v_addc_co_u32_e32 v81, vcc, v74, v9, vcc
	global_load_ushort v60, v[80:81], off
	s_waitcnt vmcnt(0)
	v_lshlrev_b32_e32 v76, 16, v60
.LBB29_12:                              ;   in Loop: Header=BB29_6 Depth=2
	s_or_b64 exec, exec, s[90:91]
	global_load_ushort v79, v[2:3], off offset:6
	v_mov_b32_e32 v80, 0
	v_mov_b32_e32 v81, 0
	s_and_saveexec_b64 s[90:91], s[56:57]
	s_cbranch_execz .LBB29_14
; %bb.13:                               ;   in Loop: Header=BB29_6 Depth=2
	v_add_co_u32_e32 v82, vcc, v73, v10
	v_addc_co_u32_e32 v83, vcc, v74, v11, vcc
	global_load_ushort v60, v[82:83], off
	s_waitcnt vmcnt(0)
	v_lshlrev_b32_e32 v81, 16, v60
.LBB29_14:                              ;   in Loop: Header=BB29_6 Depth=2
	s_or_b64 exec, exec, s[90:91]
	global_load_ushort v82, v[2:3], off offset:8
	s_and_saveexec_b64 s[90:91], s[58:59]
	s_cbranch_execz .LBB29_16
; %bb.15:                               ;   in Loop: Header=BB29_6 Depth=2
	v_add_co_u32_e32 v84, vcc, v73, v12
	v_addc_co_u32_e32 v85, vcc, v74, v13, vcc
	global_load_ushort v60, v[84:85], off
	s_waitcnt vmcnt(0)
	v_lshlrev_b32_e32 v80, 16, v60
.LBB29_16:                              ;   in Loop: Header=BB29_6 Depth=2
	s_or_b64 exec, exec, s[90:91]
	global_load_ushort v83, v[2:3], off offset:10
	v_mov_b32_e32 v84, 0
	v_mov_b32_e32 v85, 0
	s_and_saveexec_b64 s[90:91], s[60:61]
	s_cbranch_execz .LBB29_18
; %bb.17:                               ;   in Loop: Header=BB29_6 Depth=2
	v_add_co_u32_e32 v86, vcc, v73, v14
	v_addc_co_u32_e32 v87, vcc, v74, v15, vcc
	global_load_ushort v60, v[86:87], off
	s_waitcnt vmcnt(0)
	v_lshlrev_b32_e32 v85, 16, v60
.LBB29_18:                              ;   in Loop: Header=BB29_6 Depth=2
	;; [unrolled: 24-line block ×12, first 2 shown]
	s_or_b64 exec, exec, s[90:91]
	global_load_ushort v126, v[2:3], off offset:52
	s_and_saveexec_b64 s[90:91], s[88:89]
	s_cbranch_execz .LBB29_5
; %bb.59:                               ;   in Loop: Header=BB29_6 Depth=2
	v_add_co_u32_e32 v60, vcc, v73, v56
	v_addc_co_u32_e32 v61, vcc, v74, v57, vcc
	global_load_ushort v60, v[60:61], off
	s_waitcnt vmcnt(0)
	v_lshlrev_b32_e32 v124, 16, v60
	s_branch .LBB29_5
.LBB29_60:
	s_endpgm
	.section	.rodata,"a",@progbits
	.p2align	6, 0x0
	.amdhsa_kernel _ZN2at6native12_GLOBAL__N_143conv_depthwise3d_cuda_backward_input_kernelIN3c108BFloat16EfLi3ELi3ELi3ELin1ELin1ELin1ELi1ELi1ELi1EEEvN5torch10headeronly6detail27GenericPackedTensorAccessorINS7_14TensorAccessorINS3_8ArrayRefIlEEKT_Lm4ENS6_16DefaultPtrTraitsEiEENS_6detail16IndexBoundsCheckILm5EiEESD_Lm5ESE_iEENS8_INS9_ISB_SC_Lm4ESE_iEESI_SC_Lm5ESE_iEESJ_iiiiiiiii
		.amdhsa_group_segment_fixed_size 0
		.amdhsa_private_segment_fixed_size 12
		.amdhsa_kernarg_size 440
		.amdhsa_user_sgpr_count 6
		.amdhsa_user_sgpr_private_segment_buffer 1
		.amdhsa_user_sgpr_dispatch_ptr 0
		.amdhsa_user_sgpr_queue_ptr 0
		.amdhsa_user_sgpr_kernarg_segment_ptr 1
		.amdhsa_user_sgpr_dispatch_id 0
		.amdhsa_user_sgpr_flat_scratch_init 0
		.amdhsa_user_sgpr_kernarg_preload_length 0
		.amdhsa_user_sgpr_kernarg_preload_offset 0
		.amdhsa_user_sgpr_private_segment_size 0
		.amdhsa_uses_dynamic_stack 0
		.amdhsa_system_sgpr_private_segment_wavefront_offset 1
		.amdhsa_system_sgpr_workgroup_id_x 1
		.amdhsa_system_sgpr_workgroup_id_y 0
		.amdhsa_system_sgpr_workgroup_id_z 0
		.amdhsa_system_sgpr_workgroup_info 0
		.amdhsa_system_vgpr_workitem_id 0
		.amdhsa_next_free_vgpr 128
		.amdhsa_next_free_sgpr 100
		.amdhsa_accum_offset 128
		.amdhsa_reserve_vcc 1
		.amdhsa_reserve_flat_scratch 0
		.amdhsa_float_round_mode_32 0
		.amdhsa_float_round_mode_16_64 0
		.amdhsa_float_denorm_mode_32 3
		.amdhsa_float_denorm_mode_16_64 3
		.amdhsa_dx10_clamp 1
		.amdhsa_ieee_mode 1
		.amdhsa_fp16_overflow 0
		.amdhsa_tg_split 0
		.amdhsa_exception_fp_ieee_invalid_op 0
		.amdhsa_exception_fp_denorm_src 0
		.amdhsa_exception_fp_ieee_div_zero 0
		.amdhsa_exception_fp_ieee_overflow 0
		.amdhsa_exception_fp_ieee_underflow 0
		.amdhsa_exception_fp_ieee_inexact 0
		.amdhsa_exception_int_div_zero 0
	.end_amdhsa_kernel
	.section	.text._ZN2at6native12_GLOBAL__N_143conv_depthwise3d_cuda_backward_input_kernelIN3c108BFloat16EfLi3ELi3ELi3ELin1ELin1ELin1ELi1ELi1ELi1EEEvN5torch10headeronly6detail27GenericPackedTensorAccessorINS7_14TensorAccessorINS3_8ArrayRefIlEEKT_Lm4ENS6_16DefaultPtrTraitsEiEENS_6detail16IndexBoundsCheckILm5EiEESD_Lm5ESE_iEENS8_INS9_ISB_SC_Lm4ESE_iEESI_SC_Lm5ESE_iEESJ_iiiiiiiii,"axG",@progbits,_ZN2at6native12_GLOBAL__N_143conv_depthwise3d_cuda_backward_input_kernelIN3c108BFloat16EfLi3ELi3ELi3ELin1ELin1ELin1ELi1ELi1ELi1EEEvN5torch10headeronly6detail27GenericPackedTensorAccessorINS7_14TensorAccessorINS3_8ArrayRefIlEEKT_Lm4ENS6_16DefaultPtrTraitsEiEENS_6detail16IndexBoundsCheckILm5EiEESD_Lm5ESE_iEENS8_INS9_ISB_SC_Lm4ESE_iEESI_SC_Lm5ESE_iEESJ_iiiiiiiii,comdat
.Lfunc_end29:
	.size	_ZN2at6native12_GLOBAL__N_143conv_depthwise3d_cuda_backward_input_kernelIN3c108BFloat16EfLi3ELi3ELi3ELin1ELin1ELin1ELi1ELi1ELi1EEEvN5torch10headeronly6detail27GenericPackedTensorAccessorINS7_14TensorAccessorINS3_8ArrayRefIlEEKT_Lm4ENS6_16DefaultPtrTraitsEiEENS_6detail16IndexBoundsCheckILm5EiEESD_Lm5ESE_iEENS8_INS9_ISB_SC_Lm4ESE_iEESI_SC_Lm5ESE_iEESJ_iiiiiiiii, .Lfunc_end29-_ZN2at6native12_GLOBAL__N_143conv_depthwise3d_cuda_backward_input_kernelIN3c108BFloat16EfLi3ELi3ELi3ELin1ELin1ELin1ELi1ELi1ELi1EEEvN5torch10headeronly6detail27GenericPackedTensorAccessorINS7_14TensorAccessorINS3_8ArrayRefIlEEKT_Lm4ENS6_16DefaultPtrTraitsEiEENS_6detail16IndexBoundsCheckILm5EiEESD_Lm5ESE_iEENS8_INS9_ISB_SC_Lm4ESE_iEESI_SC_Lm5ESE_iEESJ_iiiiiiiii
                                        ; -- End function
	.section	.AMDGPU.csdata,"",@progbits
; Kernel info:
; codeLenInByte = 4504
; NumSgprs: 104
; NumVgprs: 128
; NumAgprs: 0
; TotalNumVgprs: 128
; ScratchSize: 12
; MemoryBound: 0
; FloatMode: 240
; IeeeMode: 1
; LDSByteSize: 0 bytes/workgroup (compile time only)
; SGPRBlocks: 12
; VGPRBlocks: 15
; NumSGPRsForWavesPerEU: 104
; NumVGPRsForWavesPerEU: 128
; AccumOffset: 128
; Occupancy: 4
; WaveLimiterHint : 0
; COMPUTE_PGM_RSRC2:SCRATCH_EN: 1
; COMPUTE_PGM_RSRC2:USER_SGPR: 6
; COMPUTE_PGM_RSRC2:TRAP_HANDLER: 0
; COMPUTE_PGM_RSRC2:TGID_X_EN: 1
; COMPUTE_PGM_RSRC2:TGID_Y_EN: 0
; COMPUTE_PGM_RSRC2:TGID_Z_EN: 0
; COMPUTE_PGM_RSRC2:TIDIG_COMP_CNT: 0
; COMPUTE_PGM_RSRC3_GFX90A:ACCUM_OFFSET: 31
; COMPUTE_PGM_RSRC3_GFX90A:TG_SPLIT: 0
	.section	.text._ZN2at6native12_GLOBAL__N_143conv_depthwise3d_cuda_backward_input_kernelIN3c108BFloat16EfLi3ELi3ELi3ELin1ELin1ELin1ELin1ELin1ELin1EEEvN5torch10headeronly6detail27GenericPackedTensorAccessorINS7_14TensorAccessorINS3_8ArrayRefIlEEKT_Lm4ENS6_16DefaultPtrTraitsEiEENS_6detail16IndexBoundsCheckILm5EiEESD_Lm5ESE_iEENS8_INS9_ISB_SC_Lm4ESE_iEESI_SC_Lm5ESE_iEESJ_iiiiiiiii,"axG",@progbits,_ZN2at6native12_GLOBAL__N_143conv_depthwise3d_cuda_backward_input_kernelIN3c108BFloat16EfLi3ELi3ELi3ELin1ELin1ELin1ELin1ELin1ELin1EEEvN5torch10headeronly6detail27GenericPackedTensorAccessorINS7_14TensorAccessorINS3_8ArrayRefIlEEKT_Lm4ENS6_16DefaultPtrTraitsEiEENS_6detail16IndexBoundsCheckILm5EiEESD_Lm5ESE_iEENS8_INS9_ISB_SC_Lm4ESE_iEESI_SC_Lm5ESE_iEESJ_iiiiiiiii,comdat
	.globl	_ZN2at6native12_GLOBAL__N_143conv_depthwise3d_cuda_backward_input_kernelIN3c108BFloat16EfLi3ELi3ELi3ELin1ELin1ELin1ELin1ELin1ELin1EEEvN5torch10headeronly6detail27GenericPackedTensorAccessorINS7_14TensorAccessorINS3_8ArrayRefIlEEKT_Lm4ENS6_16DefaultPtrTraitsEiEENS_6detail16IndexBoundsCheckILm5EiEESD_Lm5ESE_iEENS8_INS9_ISB_SC_Lm4ESE_iEESI_SC_Lm5ESE_iEESJ_iiiiiiiii ; -- Begin function _ZN2at6native12_GLOBAL__N_143conv_depthwise3d_cuda_backward_input_kernelIN3c108BFloat16EfLi3ELi3ELi3ELin1ELin1ELin1ELin1ELin1ELin1EEEvN5torch10headeronly6detail27GenericPackedTensorAccessorINS7_14TensorAccessorINS3_8ArrayRefIlEEKT_Lm4ENS6_16DefaultPtrTraitsEiEENS_6detail16IndexBoundsCheckILm5EiEESD_Lm5ESE_iEENS8_INS9_ISB_SC_Lm4ESE_iEESI_SC_Lm5ESE_iEESJ_iiiiiiiii
	.p2align	8
	.type	_ZN2at6native12_GLOBAL__N_143conv_depthwise3d_cuda_backward_input_kernelIN3c108BFloat16EfLi3ELi3ELi3ELin1ELin1ELin1ELin1ELin1ELin1EEEvN5torch10headeronly6detail27GenericPackedTensorAccessorINS7_14TensorAccessorINS3_8ArrayRefIlEEKT_Lm4ENS6_16DefaultPtrTraitsEiEENS_6detail16IndexBoundsCheckILm5EiEESD_Lm5ESE_iEENS8_INS9_ISB_SC_Lm4ESE_iEESI_SC_Lm5ESE_iEESJ_iiiiiiiii,@function
_ZN2at6native12_GLOBAL__N_143conv_depthwise3d_cuda_backward_input_kernelIN3c108BFloat16EfLi3ELi3ELi3ELin1ELin1ELin1ELin1ELin1ELin1EEEvN5torch10headeronly6detail27GenericPackedTensorAccessorINS7_14TensorAccessorINS3_8ArrayRefIlEEKT_Lm4ENS6_16DefaultPtrTraitsEiEENS_6detail16IndexBoundsCheckILm5EiEESD_Lm5ESE_iEENS8_INS9_ISB_SC_Lm4ESE_iEESI_SC_Lm5ESE_iEESJ_iiiiiiiii: ; @_ZN2at6native12_GLOBAL__N_143conv_depthwise3d_cuda_backward_input_kernelIN3c108BFloat16EfLi3ELi3ELi3ELin1ELin1ELin1ELin1ELin1ELin1EEEvN5torch10headeronly6detail27GenericPackedTensorAccessorINS7_14TensorAccessorINS3_8ArrayRefIlEEKT_Lm4ENS6_16DefaultPtrTraitsEiEENS_6detail16IndexBoundsCheckILm5EiEESD_Lm5ESE_iEENS8_INS9_ISB_SC_Lm4ESE_iEESI_SC_Lm5ESE_iEESJ_iiiiiiiii
; %bb.0:
	s_load_dwordx4 s[8:11], s[4:5], 0x38
	s_load_dwordx2 s[16:17], s[4:5], 0x48
	s_mov_b64 s[98:99], s[2:3]
	s_mov_b64 s[96:97], s[0:1]
	s_add_u32 s96, s96, s7
	s_addc_u32 s97, s97, 0
	s_waitcnt lgkmcnt(0)
	s_abs_i32 s0, s9
	v_cvt_f32_u32_e32 v2, s0
                                        ; implicit-def: $vgpr126 : SGPR spill to VGPR lane
	s_load_dword s2, s[4:5], 0xc4
	v_writelane_b32 v126, s0, 0
	v_writelane_b32 v126, s8, 1
	v_rcp_iflag_f32_e32 v2, v2
	v_writelane_b32 v126, s9, 2
	v_writelane_b32 v126, s10, 3
	v_writelane_b32 v126, s11, 4
	v_mul_f32_e32 v2, 0x4f7ffffe, v2
	v_cvt_u32_f32_e32 v2, v2
	s_mul_i32 s8, s17, s8
	s_add_u32 s0, s4, 0xb8
	v_mov_b32_e32 v1, 0
	v_mov_b32_e32 v3, s6
	s_addc_u32 s1, s5, 0
	s_waitcnt lgkmcnt(0)
	s_and_b32 s2, s2, 0xffff
	s_ashr_i32 s9, s8, 31
	v_mad_u64_u32 v[0:1], s[6:7], s2, v3, v[0:1]
	v_writelane_b32 v126, s8, 5
	v_readfirstlane_b32 s3, v2
	v_writelane_b32 v126, s9, 6
	v_cmp_gt_i64_e32 vcc, s[8:9], v[0:1]
	s_and_saveexec_b64 s[6:7], vcc
	s_cbranch_execz .LBB30_60
; %bb.1:
	s_load_dwordx2 s[6:7], s[4:5], 0x0
	s_load_dwordx4 s[28:31], s[4:5], 0x50
	s_load_dwordx4 s[8:11], s[4:5], 0xc
	s_load_dwordx4 s[12:15], s[4:5], 0x38
	s_load_dwordx8 s[20:27], s[4:5], 0x90
	s_waitcnt lgkmcnt(0)
	s_load_dword s12, s[4:5], 0xb0
                                        ; kill: killed $sgpr0 killed $sgpr1
	s_mov_b32 s67, 0
	v_writelane_b32 v126, s6, 7
	v_writelane_b32 v126, s7, 8
	s_ashr_i32 s6, s8, 31
	v_writelane_b32 v126, s8, 9
	v_writelane_b32 v126, s9, 10
	;; [unrolled: 1-line block ×4, first 2 shown]
	v_readlane_b32 s11, v126, 0
	s_abs_i32 s7, s8
	s_sub_i32 s8, 0, s11
	s_mul_i32 s9, s8, s3
	s_mul_hi_u32 s9, s3, s9
	s_add_i32 s3, s3, s9
	s_mul_hi_u32 s3, s7, s3
	s_mul_i32 s9, s3, s11
	s_ashr_i32 s66, s13, 31
	s_sub_i32 s7, s7, s9
	s_xor_b32 s6, s6, s66
	s_add_i32 s9, s3, 1
	s_sub_i32 s10, s7, s11
	s_cmp_ge_u32 s7, s11
	s_cselect_b32 s3, s9, s3
	s_cselect_b32 s7, s10, s7
	s_add_i32 s9, s3, 1
	s_cmp_ge_u32 s7, s11
	s_cselect_b32 s3, s9, s3
	s_xor_b32 s3, s3, s6
	s_sub_i32 s6, s3, s6
	s_load_dword s3, s[0:1], 0x0
	s_load_dword s7, s[4:5], 0x7c
	s_load_dwordx2 s[10:11], s[4:5], 0x1c
	s_load_dwordx2 s[18:19], s[4:5], 0x30
	s_abs_i32 s0, s16
	v_cvt_f32_u32_e32 v3, s0
	s_waitcnt lgkmcnt(0)
	s_mul_i32 s1, s3, s2
	v_writelane_b32 v126, s7, 13
	v_writelane_b32 v126, s18, 14
	;; [unrolled: 1-line block ×3, first 2 shown]
	s_load_dwordx2 s[18:19], s[4:5], 0x60
	v_rcp_iflag_f32_e32 v3, v3
	s_abs_i32 s2, s14
                                        ; kill: killed $sgpr4 killed $sgpr5
	s_mov_b64 s[4:5], 0
	s_waitcnt lgkmcnt(0)
	v_writelane_b32 v126, s18, 16
	v_writelane_b32 v126, s19, 17
	;; [unrolled: 1-line block ×8, first 2 shown]
	s_lshl_b32 s1, s12, 1
	v_writelane_b32 v126, s1, 24
	s_lshl_b32 s1, s27, 1
	v_mul_f32_e32 v3, 0x4f7ffffe, v3
	v_writelane_b32 v126, s1, 25
	s_lshl_b32 s1, s26, 1
	v_cvt_u32_f32_e32 v3, v3
	v_writelane_b32 v126, s1, 26
	s_ashr_i32 s1, s16, 31
	v_writelane_b32 v126, s1, 27
	s_abs_i32 s1, s15
	v_writelane_b32 v126, s0, 28
	s_sub_i32 s0, 0, s0
	v_cvt_f32_u32_e32 v4, s1
	v_mul_lo_u32 v5, s0, v3
	v_mul_hi_u32 v5, v3, v5
	v_add_u32_e32 v3, v3, v5
	buffer_store_dword v3, off, s[96:99], 0 ; 4-byte Folded Spill
	v_cvt_f32_u32_e32 v3, s2
	v_rcp_iflag_f32_e32 v4, v4
	s_ashr_i32 s0, s15, 31
	v_writelane_b32 v126, s0, 29
	v_rcp_iflag_f32_e32 v3, v3
	v_mul_f32_e32 v4, 0x4f7ffffe, v4
	v_cvt_u32_f32_e32 v4, v4
	s_sub_i32 s0, 0, s1
	v_mul_f32_e32 v3, 0x4f7ffffe, v3
	v_cvt_u32_f32_e32 v3, v3
	v_mul_lo_u32 v5, s0, v4
	v_writelane_b32 v126, s1, 30
	v_mul_hi_u32 v5, v4, v5
	s_ashr_i32 s0, s14, 31
	v_add_u32_e32 v4, v4, v5
	v_writelane_b32 v126, s0, 31
	s_sub_i32 s0, 0, s2
	buffer_store_dword v4, off, s[96:99], 0 offset:4 ; 4-byte Folded Spill
	v_mul_lo_u32 v4, s0, v3
	s_abs_i32 s0, s20
	v_cvt_f32_u32_e32 v5, s0
	v_mul_hi_u32 v4, v3, v4
	v_add_u32_e32 v3, v3, v4
	buffer_store_dword v3, off, s[96:99], 0 offset:8 ; 4-byte Folded Spill
	v_rcp_iflag_f32_e32 v4, v5
	v_mul_lo_u32 v3, s8, v2
	v_mul_hi_u32 v3, v2, v3
	v_add_u32_e32 v2, v2, v3
	buffer_store_dword v2, off, s[96:99], 0 offset:12 ; 4-byte Folded Spill
	v_mul_f32_e32 v2, 0x4f7ffffe, v4
	v_writelane_b32 v126, s2, 32
	s_ashr_i32 s1, s20, 31
	v_cvt_u32_f32_e32 v2, v2
	v_writelane_b32 v126, s1, 33
	s_abs_i32 s1, s21
	v_cvt_f32_u32_e32 v3, s1
	v_writelane_b32 v126, s0, 34
	s_sub_i32 s0, 0, s0
	v_mul_lo_u32 v4, s0, v2
	v_mul_hi_u32 v4, v2, v4
	s_ashr_i32 s0, s21, 31
	v_rcp_iflag_f32_e32 v3, v3
	v_add_u32_e32 v2, v2, v4
	s_abs_i32 s2, s22
	v_writelane_b32 v126, s0, 35
	buffer_store_dword v2, off, s[96:99], 0 offset:16 ; 4-byte Folded Spill
	v_cvt_f32_u32_e32 v2, s2
	v_writelane_b32 v126, s1, 36
	v_writelane_b32 v126, s20, 37
	;; [unrolled: 1-line block ×3, first 2 shown]
	v_mul_f32_e32 v3, 0x4f7ffffe, v3
	v_writelane_b32 v126, s22, 39
	v_cvt_u32_f32_e32 v3, v3
	v_rcp_iflag_f32_e32 v2, v2
	v_writelane_b32 v126, s23, 40
	v_writelane_b32 v126, s24, 41
	;; [unrolled: 1-line block ×3, first 2 shown]
	s_sub_i32 s0, 0, s1
	v_writelane_b32 v126, s26, 43
	v_mul_lo_u32 v4, s0, v3
	v_mul_f32_e32 v2, 0x4f7ffffe, v2
	v_writelane_b32 v126, s27, 44
	s_ashr_i32 s0, s22, 31
	v_cvt_u32_f32_e32 v2, v2
	v_writelane_b32 v126, s0, 45
	v_writelane_b32 v126, s2, 46
	v_mul_hi_u32 v4, v3, v4
	v_writelane_b32 v126, s6, 47
	v_add_u32_e32 v3, v3, v4
	s_sub_i32 s0, 0, s2
	v_writelane_b32 v126, s10, 48
	buffer_store_dword v3, off, s[96:99], 0 offset:20 ; 4-byte Folded Spill
	v_mul_lo_u32 v3, s0, v2
	v_writelane_b32 v126, s11, 49
	s_mul_i32 s0, s11, s6
	v_writelane_b32 v126, s0, 50
	v_mul_hi_u32 v3, v2, v3
	v_writelane_b32 v126, s16, 51
	v_add_u32_e32 v66, v2, v3
	v_writelane_b32 v126, s17, 52
	s_branch .LBB30_3
.LBB30_2:                               ;   in Loop: Header=BB30_3 Depth=1
	v_readlane_b32 s0, v126, 55
	v_readlane_b32 s1, v126, 56
	s_or_b64 exec, exec, s[0:1]
	v_bfe_u32 v2, v75, 16, 1
	s_movk_i32 s0, 0x7fff
	v_add3_u32 v2, v75, v2, s0
	v_readlane_b32 s16, v126, 51
	v_lshrrev_b32_e32 v2, 16, v2
	v_cmp_o_f32_e32 vcc, v75, v75
	v_mov_b32_e32 v3, 0x7fc0
	v_readlane_b32 s17, v126, 52
	v_cndmask_b32_e32 v4, v3, v2, vcc
	v_mul_lo_u32 v2, v72, s17
	v_ashrrev_i32_e32 v3, 31, v2
	v_readlane_b32 s0, v126, 14
	v_lshlrev_b64 v[2:3], 1, v[2:3]
	v_readlane_b32 s1, v126, 15
	v_mov_b32_e32 v5, s1
	v_add_co_u32_e32 v6, vcc, s0, v2
	v_readlane_b32 s0, v126, 18
	v_mul_lo_u32 v2, s0, v71
	v_addc_co_u32_e32 v5, vcc, v5, v3, vcc
	v_ashrrev_i32_e32 v3, 31, v2
	v_readlane_b32 s1, v126, 19
	v_lshlrev_b64 v[2:3], 1, v[2:3]
	v_add_co_u32_e32 v6, vcc, v6, v2
	v_mul_lo_u32 v2, s1, v70
	v_addc_co_u32_e32 v5, vcc, v5, v3, vcc
	v_ashrrev_i32_e32 v3, 31, v2
	v_readlane_b32 s2, v126, 20
	v_lshlrev_b64 v[2:3], 1, v[2:3]
	v_add_co_u32_e32 v6, vcc, v6, v2
	;; [unrolled: 6-line block ×3, first 2 shown]
	v_mul_lo_u32 v2, s3, v68
	v_addc_co_u32_e32 v5, vcc, v5, v3, vcc
	v_ashrrev_i32_e32 v3, 31, v2
	v_lshlrev_b64 v[2:3], 1, v[2:3]
	v_add_co_u32_e32 v2, vcc, v6, v2
	v_addc_co_u32_e32 v3, vcc, v5, v3, vcc
	v_readlane_b32 s0, v126, 22
	v_mov_b32_e32 v5, s67
	v_add_co_u32_e32 v0, vcc, s0, v0
	v_readlane_b32 s0, v126, 5
	v_readlane_b32 s4, v126, 53
	v_addc_co_u32_e32 v1, vcc, v1, v5, vcc
	v_readlane_b32 s1, v126, 6
	v_readlane_b32 s5, v126, 54
	v_cmp_le_i64_e32 vcc, s[0:1], v[0:1]
	s_or_b64 s[4:5], vcc, s[4:5]
	global_store_short v[2:3], v4, off
	s_andn2_b64 exec, exec, s[4:5]
	s_cbranch_execz .LBB30_60
.LBB30_3:                               ; =>This Loop Header: Depth=1
                                        ;     Child Loop BB30_6 Depth 2
	buffer_load_dword v4, off, s[96:99], 0  ; 4-byte Folded Reload
	v_writelane_b32 v126, s4, 53
	v_writelane_b32 v126, s5, 54
	v_sub_u32_e32 v3, 0, v0
	v_ashrrev_i32_e32 v2, 31, v0
	v_readlane_b32 s0, v126, 27
	v_max_i32_e32 v3, v0, v3
	v_xor_b32_e32 v2, s0, v2
	v_readlane_b32 s0, v126, 28
	v_mov_b32_e32 v75, 0
	s_waitcnt vmcnt(0)
	v_mul_hi_u32 v4, v3, v4
	v_mul_lo_u32 v5, v4, s0
	v_sub_u32_e32 v3, v3, v5
	v_add_u32_e32 v5, 1, v4
	v_cmp_le_u32_e32 vcc, s0, v3
	v_cndmask_b32_e32 v4, v4, v5, vcc
	v_subrev_u32_e32 v5, s0, v3
	v_cndmask_b32_e32 v3, v3, v5, vcc
	v_add_u32_e32 v5, 1, v4
	v_cmp_le_u32_e32 vcc, s0, v3
	v_cndmask_b32_e32 v3, v4, v5, vcc
	buffer_load_dword v5, off, s[96:99], 0 offset:4 ; 4-byte Folded Reload
	v_xor_b32_e32 v3, v3, v2
	v_sub_u32_e32 v2, v3, v2
	v_mul_lo_u32 v3, v2, s16
	v_sub_u32_e32 v4, 0, v2
	v_sub_u32_e32 v68, v0, v3
	v_ashrrev_i32_e32 v3, 31, v2
	v_readlane_b32 s0, v126, 29
	v_max_i32_e32 v4, v2, v4
	v_xor_b32_e32 v3, s0, v3
	v_readlane_b32 s0, v126, 30
	s_waitcnt vmcnt(0)
	v_mul_hi_u32 v5, v4, v5
	v_mul_lo_u32 v6, v5, s0
	v_sub_u32_e32 v4, v4, v6
	v_add_u32_e32 v6, 1, v5
	v_cmp_le_u32_e32 vcc, s0, v4
	v_cndmask_b32_e32 v5, v5, v6, vcc
	v_subrev_u32_e32 v6, s0, v4
	v_cndmask_b32_e32 v4, v4, v6, vcc
	v_add_u32_e32 v6, 1, v5
	v_cmp_le_u32_e32 vcc, s0, v4
	v_cndmask_b32_e32 v4, v5, v6, vcc
	buffer_load_dword v5, off, s[96:99], 0 offset:8 ; 4-byte Folded Reload
	v_xor_b32_e32 v4, v4, v3
	v_readlane_b32 s0, v126, 1
	v_sub_u32_e32 v3, v4, v3
	v_readlane_b32 s3, v126, 4
	v_mul_lo_u32 v4, v3, s3
	v_sub_u32_e32 v69, v2, v4
	v_sub_u32_e32 v4, 0, v3
	v_ashrrev_i32_e32 v2, 31, v3
	v_readlane_b32 s0, v126, 31
	v_max_i32_e32 v4, v3, v4
	v_xor_b32_e32 v2, s0, v2
	v_readlane_b32 s0, v126, 32
	v_readlane_b32 s2, v126, 3
	;; [unrolled: 1-line block ×3, first 2 shown]
	s_waitcnt vmcnt(0)
	v_mul_hi_u32 v5, v4, v5
	v_mul_lo_u32 v6, v5, s0
	v_sub_u32_e32 v4, v4, v6
	v_add_u32_e32 v6, 1, v5
	v_cmp_le_u32_e32 vcc, s0, v4
	v_cndmask_b32_e32 v5, v5, v6, vcc
	v_subrev_u32_e32 v6, s0, v4
	v_cndmask_b32_e32 v4, v4, v6, vcc
	v_add_u32_e32 v6, 1, v5
	v_cmp_le_u32_e32 vcc, s0, v4
	v_cndmask_b32_e32 v4, v5, v6, vcc
	buffer_load_dword v5, off, s[96:99], 0 offset:12 ; 4-byte Folded Reload
	v_xor_b32_e32 v4, v4, v2
	v_sub_u32_e32 v2, v4, v2
	v_mul_lo_u32 v4, v2, s2
	v_sub_u32_e32 v70, v3, v4
	v_sub_u32_e32 v4, 0, v2
	v_max_i32_e32 v4, v2, v4
	v_readlane_b32 s0, v126, 0
	v_ashrrev_i32_e32 v3, 31, v2
	v_xor_b32_e32 v3, s66, v3
	s_waitcnt vmcnt(0)
	v_mul_hi_u32 v5, v4, v5
	v_mul_lo_u32 v6, v5, s0
	v_sub_u32_e32 v4, v4, v6
	v_add_u32_e32 v6, 1, v5
	v_cmp_le_u32_e32 vcc, s0, v4
	v_cndmask_b32_e32 v5, v5, v6, vcc
	v_subrev_u32_e32 v6, s0, v4
	v_cndmask_b32_e32 v4, v4, v6, vcc
	v_add_u32_e32 v6, 1, v5
	v_cmp_le_u32_e32 vcc, s0, v4
	v_cndmask_b32_e32 v4, v5, v6, vcc
	v_xor_b32_e32 v4, v4, v3
	v_sub_u32_e32 v72, v4, v3
	v_mul_lo_u32 v3, v72, s1
	v_sub_u32_e32 v71, v2, v3
	v_readlane_b32 s0, v126, 47
	v_mul_lo_u32 v2, v71, s0
	v_add_u32_e32 v3, s0, v2
	v_cmp_lt_i32_e32 vcc, v2, v3
	s_mov_b64 s[0:1], exec
	v_writelane_b32 v126, s0, 55
	v_writelane_b32 v126, s1, 56
	s_and_b64 s[0:1], s[0:1], vcc
	s_mov_b64 exec, s[0:1]
	s_cbranch_execz .LBB30_2
; %bb.4:                                ;   in Loop: Header=BB30_3 Depth=1
	buffer_load_dword v19, off, s[96:99], 0 offset:16 ; 4-byte Folded Reload
	buffer_load_dword v14, off, s[96:99], 0 offset:20 ; 4-byte Folded Reload
	v_readlane_b32 s0, v126, 13
	v_mul_lo_u32 v2, s0, v2
	v_ashrrev_i32_e32 v3, 31, v2
	v_readlane_b32 s0, v126, 16
	v_lshlrev_b64 v[2:3], 1, v[2:3]
	v_readlane_b32 s1, v126, 17
	v_mov_b32_e32 v4, s1
	v_add_co_u32_e32 v2, vcc, s0, v2
	v_readlane_b32 s0, v126, 48
	v_readlane_b32 s40, v126, 37
	v_mul_lo_u32 v6, s0, v72
	v_readlane_b32 s43, v126, 40
	v_readlane_b32 s1, v126, 49
	v_ashrrev_i32_e32 v7, 31, v6
	v_add_u32_e32 v10, s43, v70
	v_addc_co_u32_e32 v3, vcc, v4, v3, vcc
	v_lshlrev_b64 v[6:7], 1, v[6:7]
	v_readlane_b32 s0, v126, 7
	v_readlane_b32 s1, v126, 8
	v_add_co_u32_e32 v73, vcc, s0, v6
	v_sub_u32_e32 v6, 0, v10
	v_mov_b32_e32 v4, s1
	v_max_i32_e32 v6, v10, v6
	v_addc_co_u32_e32 v74, vcc, v4, v7, vcc
	v_readlane_b32 s1, v126, 34
	v_ashrrev_i32_e32 v4, 31, v10
	v_readlane_b32 s20, v126, 33
	v_readlane_b32 s44, v126, 41
	v_xor_b32_e32 v4, s20, v4
	v_add_u32_e32 v11, s44, v69
	v_readlane_b32 s4, v126, 36
	v_readlane_b32 s45, v126, 42
	v_add_u32_e32 v5, s45, v68
	v_readlane_b32 s8, v126, 46
	v_readlane_b32 s0, v126, 25
	v_subrev_u32_e32 v15, s0, v11
	v_readlane_b32 s47, v126, 44
	v_readlane_b32 s5, v126, 35
	v_subrev_u32_e32 v17, s47, v11
	;; [unrolled: 3-line block ×3, first 2 shown]
	v_readlane_b32 s46, v126, 43
	v_subrev_u32_e32 v20, s46, v10
	s_mov_b32 s33, s66
	v_readlane_b32 s64, v126, 9
	v_readlane_b32 s67, v126, 12
	;; [unrolled: 1-line block ×6, first 2 shown]
                                        ; implicit-def: $vgpr127 : SGPR spill to VGPR lane
	v_mov_b32_e32 v75, 0
	s_waitcnt vmcnt(1)
	v_mul_hi_u32 v7, v6, v19
	v_mul_lo_u32 v8, v7, s1
	v_sub_u32_e32 v6, v6, v8
	v_add_u32_e32 v8, 1, v7
	v_cmp_le_u32_e32 vcc, s1, v6
	v_cndmask_b32_e32 v7, v7, v8, vcc
	v_subrev_u32_e32 v8, s1, v6
	v_cndmask_b32_e32 v6, v6, v8, vcc
	v_add_u32_e32 v8, 1, v7
	v_cmp_le_u32_e32 vcc, s1, v6
	v_cndmask_b32_e32 v6, v7, v8, vcc
	v_xor_b32_e32 v6, v6, v4
	v_sub_u32_e32 v7, v6, v4
	v_sub_u32_e32 v6, 0, v11
	v_max_i32_e32 v6, v11, v6
	s_waitcnt vmcnt(0)
	v_mul_hi_u32 v8, v6, v14
	v_mul_lo_u32 v9, v8, s4
	v_sub_u32_e32 v6, v6, v9
	v_add_u32_e32 v9, 1, v8
	v_cmp_le_u32_e32 vcc, s4, v6
	v_cndmask_b32_e32 v8, v8, v9, vcc
	v_subrev_u32_e32 v9, s4, v6
	v_cndmask_b32_e32 v6, v6, v9, vcc
	v_add_u32_e32 v9, 1, v8
	v_cmp_le_u32_e32 vcc, s4, v6
	v_cndmask_b32_e32 v6, v8, v9, vcc
	v_sub_u32_e32 v8, 0, v5
	v_max_i32_e32 v8, v5, v8
	v_mul_hi_u32 v9, v8, v66
	v_mul_lo_u32 v12, v9, s8
	v_sub_u32_e32 v8, v8, v12
	v_add_u32_e32 v12, 1, v9
	v_cmp_le_u32_e32 vcc, s8, v8
	v_cndmask_b32_e32 v9, v9, v12, vcc
	v_subrev_u32_e32 v12, s8, v8
	v_cndmask_b32_e32 v8, v8, v12, vcc
	v_add_u32_e32 v12, 1, v9
	v_cmp_le_u32_e32 vcc, s8, v8
	v_cndmask_b32_e32 v8, v9, v12, vcc
	v_sub_u32_e32 v9, 0, v15
	v_max_i32_e32 v9, v15, v9
	v_mul_hi_u32 v12, v9, v14
	v_mul_lo_u32 v13, v12, s4
	v_sub_u32_e32 v9, v9, v13
	v_add_u32_e32 v13, 1, v12
	v_cmp_le_u32_e32 vcc, s4, v9
	v_cndmask_b32_e32 v12, v12, v13, vcc
	v_subrev_u32_e32 v13, s4, v9
	v_cndmask_b32_e32 v9, v9, v13, vcc
	v_ashrrev_i32_e32 v4, 31, v11
	v_add_u32_e32 v13, 1, v12
	v_cmp_le_u32_e32 vcc, s4, v9
	v_xor_b32_e32 v4, s5, v4
	v_cndmask_b32_e32 v9, v12, v13, vcc
	v_sub_u32_e32 v12, 0, v17
	v_xor_b32_e32 v6, v6, v4
	v_max_i32_e32 v12, v17, v12
	v_sub_u32_e32 v4, v6, v4
	v_ashrrev_i32_e32 v6, 31, v5
	v_mul_hi_u32 v13, v12, v14
	v_xor_b32_e32 v6, s9, v6
	v_mul_lo_u32 v14, v13, s4
	v_xor_b32_e32 v8, v8, v6
	v_sub_u32_e32 v12, v12, v14
	v_sub_u32_e32 v6, v8, v6
	v_ashrrev_i32_e32 v8, 31, v15
	v_add_u32_e32 v14, 1, v13
	v_cmp_le_u32_e32 vcc, s4, v12
	v_xor_b32_e32 v8, s5, v8
	v_cndmask_b32_e32 v13, v13, v14, vcc
	v_subrev_u32_e32 v14, s4, v12
	v_xor_b32_e32 v9, v9, v8
	v_cndmask_b32_e32 v12, v12, v14, vcc
	v_sub_u32_e32 v8, v9, v8
	v_ashrrev_i32_e32 v9, 31, v17
	v_add_u32_e32 v14, 1, v13
	v_cmp_le_u32_e32 vcc, s4, v12
	v_xor_b32_e32 v9, s5, v9
	v_cndmask_b32_e32 v12, v13, v14, vcc
	v_xor_b32_e32 v12, v12, v9
	v_sub_u32_e32 v9, v12, v9
	v_sub_u32_e32 v12, 0, v18
	v_max_i32_e32 v12, v18, v12
	v_mul_hi_u32 v13, v12, v19
	v_mul_lo_u32 v14, v13, s1
	v_sub_u32_e32 v12, v12, v14
	v_add_u32_e32 v14, 1, v13
	v_cmp_le_u32_e32 vcc, s1, v12
	v_cndmask_b32_e32 v13, v13, v14, vcc
	v_subrev_u32_e32 v14, s1, v12
	v_cndmask_b32_e32 v12, v12, v14, vcc
	v_add_u32_e32 v14, 1, v13
	v_cmp_le_u32_e32 vcc, s1, v12
	v_cndmask_b32_e32 v26, v13, v14, vcc
	v_sub_u32_e32 v13, 0, v20
	v_max_i32_e32 v13, v20, v13
	v_mul_hi_u32 v14, v13, v19
	v_mul_lo_u32 v19, v14, s1
	v_sub_u32_e32 v13, v13, v19
	v_add_u32_e32 v19, 1, v14
	v_cmp_le_u32_e32 vcc, s1, v13
	v_cndmask_b32_e32 v14, v14, v19, vcc
	v_subrev_u32_e32 v19, s1, v13
	v_cndmask_b32_e32 v13, v13, v19, vcc
	v_ashrrev_i32_e32 v12, 31, v20
	v_add_u32_e32 v19, 1, v14
	v_cmp_le_u32_e32 vcc, s1, v13
	v_xor_b32_e32 v12, s20, v12
	v_cndmask_b32_e32 v13, v14, v19, vcc
	v_or_b32_e32 v24, v6, v4
	v_xor_b32_e32 v13, v13, v12
	v_sub_u32_e32 v13, v13, v12
	v_or_b32_e32 v12, v24, v7
	v_cmp_lt_i32_e64 s[0:1], -1, v12
	v_cmp_gt_i32_e32 vcc, s67, v6
	v_cmp_gt_i32_e64 s[2:3], s66, v4
	s_and_b64 s[0:1], vcc, s[0:1]
	v_cmp_gt_i32_e64 s[6:7], s65, v7
	s_and_b64 s[0:1], s[0:1], s[2:3]
	s_and_b64 s[0:1], s[0:1], s[6:7]
	v_writelane_b32 v126, s0, 57
	v_writelane_b32 v126, s1, 58
	v_readlane_b32 s0, v126, 23
	v_subrev_u32_e32 v19, s0, v5
	v_sub_u32_e32 v14, 0, v19
	v_max_i32_e32 v14, v19, v14
	v_mul_hi_u32 v21, v14, v66
	v_mul_lo_u32 v23, v21, s8
	v_sub_u32_e32 v14, v14, v23
	v_add_u32_e32 v23, 1, v21
	v_cmp_le_u32_e64 s[0:1], s8, v14
	v_cndmask_b32_e64 v21, v21, v23, s[0:1]
	v_subrev_u32_e32 v23, s8, v14
	v_cndmask_b32_e64 v14, v14, v23, s[0:1]
	v_ashrrev_i32_e32 v12, 31, v19
	v_add_u32_e32 v23, 1, v21
	v_cmp_le_u32_e64 s[0:1], s8, v14
	v_xor_b32_e32 v12, s9, v12
	v_cndmask_b32_e64 v14, v21, v23, s[0:1]
	v_xor_b32_e32 v14, v14, v12
	v_sub_u32_e32 v12, v14, v12
	v_or_b32_e32 v28, v12, v4
	v_or_b32_e32 v14, v28, v7
	v_cmp_lt_i32_e64 s[4:5], -1, v14
	v_cmp_gt_i32_e64 s[0:1], s67, v12
	s_and_b64 s[4:5], s[0:1], s[4:5]
	s_and_b64 s[4:5], s[4:5], s[2:3]
	;; [unrolled: 1-line block ×3, first 2 shown]
	v_writelane_b32 v126, s4, 59
	v_writelane_b32 v126, s5, 60
	v_readlane_b32 s4, v126, 24
	v_subrev_u32_e32 v21, s4, v5
	v_sub_u32_e32 v25, 0, v21
	v_max_i32_e32 v25, v21, v25
	v_mul_hi_u32 v31, v25, v66
	v_mul_lo_u32 v32, v31, s8
	v_sub_u32_e32 v25, v25, v32
	v_add_u32_e32 v32, 1, v31
	v_cmp_le_u32_e64 s[4:5], s8, v25
	v_cndmask_b32_e64 v31, v31, v32, s[4:5]
	v_subrev_u32_e32 v32, s8, v25
	v_cndmask_b32_e64 v25, v25, v32, s[4:5]
	v_ashrrev_i32_e32 v14, 31, v21
	v_add_u32_e32 v32, 1, v31
	v_cmp_le_u32_e64 s[4:5], s8, v25
	v_xor_b32_e32 v14, s9, v14
	v_cndmask_b32_e64 v25, v31, v32, s[4:5]
	v_xor_b32_e32 v25, v25, v14
	v_sub_u32_e32 v14, v25, v14
	v_or_b32_e32 v32, v14, v4
	v_or_b32_e32 v34, v32, v7
	v_cmp_lt_i32_e64 s[8:9], -1, v34
	v_cmp_gt_i32_e64 s[4:5], s67, v14
	s_and_b64 s[8:9], s[4:5], s[8:9]
	s_and_b64 s[8:9], s[8:9], s[2:3]
	v_or_b32_e32 v22, v6, v9
	s_and_b64 s[8:9], s[8:9], s[6:7]
	v_writelane_b32 v126, s8, 61
	v_or_b32_e32 v35, v22, v7
	v_writelane_b32 v126, s9, 62
	v_cmp_lt_i32_e64 s[8:9], -1, v35
	v_cmp_gt_i32_e64 s[10:11], s66, v9
	s_and_b64 s[8:9], vcc, s[8:9]
	s_and_b64 s[8:9], s[8:9], s[10:11]
	v_or_b32_e32 v27, v12, v9
	s_and_b64 s[8:9], s[8:9], s[6:7]
	v_writelane_b32 v126, s8, 63
	v_or_b32_e32 v36, v27, v7
	v_writelane_b32 v127, s9, 0
	v_cmp_lt_i32_e64 s[8:9], -1, v36
	s_and_b64 s[8:9], s[0:1], s[8:9]
	s_and_b64 s[8:9], s[8:9], s[10:11]
	v_or_b32_e32 v31, v14, v9
	s_and_b64 s[8:9], s[8:9], s[6:7]
	v_writelane_b32 v127, s8, 1
	v_or_b32_e32 v37, v31, v7
	v_writelane_b32 v127, s9, 2
	v_cmp_lt_i32_e64 s[8:9], -1, v37
	s_and_b64 s[8:9], s[4:5], s[8:9]
	v_or_b32_e32 v16, v6, v8
	s_and_b64 s[8:9], s[8:9], s[10:11]
	s_and_b64 s[8:9], s[8:9], s[6:7]
	v_or_b32_e32 v38, v16, v7
	v_writelane_b32 v127, s8, 3
	v_cmp_lt_i32_e64 s[12:13], -1, v38
	v_writelane_b32 v127, s9, 4
	v_cmp_gt_i32_e64 s[8:9], s66, v8
	s_and_b64 s[12:13], vcc, s[12:13]
	s_and_b64 s[12:13], s[12:13], s[8:9]
	v_or_b32_e32 v23, v12, v8
	s_and_b64 s[12:13], s[12:13], s[6:7]
	v_writelane_b32 v127, s12, 5
	v_or_b32_e32 v39, v23, v7
	v_writelane_b32 v127, s13, 6
	v_cmp_lt_i32_e64 s[12:13], -1, v39
	s_and_b64 s[12:13], s[0:1], s[12:13]
	s_and_b64 s[12:13], s[12:13], s[8:9]
	v_or_b32_e32 v25, v14, v8
	s_and_b64 s[12:13], s[12:13], s[6:7]
	v_writelane_b32 v127, s12, 7
	v_or_b32_e32 v40, v25, v7
	v_writelane_b32 v127, s13, 8
	v_cmp_lt_i32_e64 s[12:13], -1, v40
	s_and_b64 s[12:13], s[4:5], s[12:13]
	s_and_b64 s[12:13], s[12:13], s[8:9]
	v_or_b32_e32 v29, v24, v13
	s_and_b64 s[6:7], s[12:13], s[6:7]
	v_writelane_b32 v127, s6, 9
	v_cmp_lt_i32_e64 s[12:13], -1, v29
	s_and_b64 s[14:15], vcc, s[2:3]
	v_or_b32_e32 v30, v28, v13
	v_writelane_b32 v127, s7, 10
	v_cmp_gt_i32_e64 s[6:7], s65, v13
	s_and_b64 s[12:13], s[14:15], s[12:13]
	s_and_b64 s[72:73], s[12:13], s[6:7]
	v_cmp_lt_i32_e64 s[12:13], -1, v30
	s_and_b64 s[16:17], s[0:1], s[2:3]
	v_or_b32_e32 v33, v32, v13
	s_and_b64 s[12:13], s[16:17], s[12:13]
	s_and_b64 s[74:75], s[12:13], s[6:7]
	v_cmp_lt_i32_e64 s[12:13], -1, v33
	s_and_b64 s[18:19], s[4:5], s[2:3]
	v_or_b32_e32 v34, v22, v13
	s_and_b64 s[2:3], s[18:19], s[12:13]
	s_and_b64 s[56:57], s[2:3], s[6:7]
	v_cmp_lt_i32_e64 s[2:3], -1, v34
	s_and_b64 s[2:3], vcc, s[2:3]
	v_or_b32_e32 v35, v27, v13
	s_and_b64 s[2:3], s[2:3], s[10:11]
	s_and_b64 s[58:59], s[2:3], s[6:7]
	v_cmp_lt_i32_e64 s[2:3], -1, v35
	s_and_b64 s[2:3], s[0:1], s[2:3]
	v_or_b32_e32 v36, v31, v13
	s_and_b64 s[2:3], s[2:3], s[10:11]
	s_and_b64 s[60:61], s[2:3], s[6:7]
	v_cmp_lt_i32_e64 s[2:3], -1, v36
	s_and_b64 s[2:3], s[4:5], s[2:3]
	v_or_b32_e32 v37, v16, v13
	s_and_b64 s[2:3], s[2:3], s[10:11]
	s_and_b64 s[62:63], s[2:3], s[6:7]
	v_cmp_lt_i32_e64 s[2:3], -1, v37
	s_and_b64 s[2:3], vcc, s[2:3]
	v_or_b32_e32 v38, v23, v13
	s_and_b64 s[2:3], s[2:3], s[8:9]
	s_and_b64 s[90:91], s[2:3], s[6:7]
	v_cmp_lt_i32_e64 s[2:3], -1, v38
	s_and_b64 s[2:3], s[0:1], s[2:3]
	v_ashrrev_i32_e32 v29, 31, v18
	v_or_b32_e32 v39, v25, v13
	s_and_b64 s[2:3], s[2:3], s[8:9]
	v_xor_b32_e32 v29, s20, v29
	s_and_b64 s[68:69], s[2:3], s[6:7]
	v_cmp_lt_i32_e64 s[2:3], -1, v39
	v_xor_b32_e32 v26, v26, v29
	s_and_b64 s[2:3], s[4:5], s[2:3]
	v_sub_u32_e32 v50, v26, v29
	s_and_b64 s[2:3], s[2:3], s[8:9]
	v_or_b32_e32 v24, v24, v50
	s_and_b64 s[70:71], s[2:3], s[6:7]
	v_cmp_lt_i32_e64 s[2:3], -1, v24
	v_or_b32_e32 v24, v28, v50
	s_and_b64 s[14:15], s[14:15], s[2:3]
	v_cmp_lt_i32_e64 s[2:3], -1, v24
	v_or_b32_e32 v24, v32, v50
	s_and_b64 s[16:17], s[16:17], s[2:3]
	v_cmp_lt_i32_e64 s[2:3], -1, v24
	v_or_b32_e32 v22, v22, v50
	s_and_b64 s[18:19], s[18:19], s[2:3]
	v_cmp_lt_i32_e64 s[2:3], -1, v22
	v_or_b32_e32 v24, v27, v50
	s_and_b64 s[2:3], vcc, s[2:3]
	s_and_b64 s[20:21], s[2:3], s[10:11]
	v_cmp_lt_i32_e64 s[2:3], -1, v24
	v_or_b32_e32 v26, v31, v50
	s_and_b64 s[2:3], s[0:1], s[2:3]
	s_and_b64 s[22:23], s[2:3], s[10:11]
	v_cmp_lt_i32_e64 s[2:3], -1, v26
	s_and_b64 s[2:3], s[4:5], s[2:3]
	v_mul_lo_u32 v22, v7, s40
	v_mul_lo_u32 v24, v4, s41
	;; [unrolled: 1-line block ×4, first 2 shown]
	s_and_b64 s[24:25], s[2:3], s[10:11]
	v_cmp_eq_u32_e64 s[2:3], v22, v10
	v_cmp_eq_u32_e64 s[6:7], v24, v11
	v_cmp_eq_u32_e64 s[10:11], v26, v17
	v_cmp_eq_u32_e64 s[12:13], v27, v15
	v_mul_lo_u32 v10, v13, s40
	s_and_b64 s[26:27], s[2:3], s[6:7]
	s_and_b64 s[28:29], s[2:3], s[10:11]
	;; [unrolled: 1-line block ×3, first 2 shown]
	v_cmp_eq_u32_e64 s[2:3], v10, v20
	v_mul_lo_u32 v10, v50, s40
	s_and_b64 s[34:35], s[2:3], s[6:7]
	s_and_b64 s[36:37], s[2:3], s[10:11]
	;; [unrolled: 1-line block ×3, first 2 shown]
	v_cmp_eq_u32_e64 s[2:3], v10, v18
	v_or_b32_e32 v10, v16, v50
	s_and_b64 s[40:41], s[2:3], s[6:7]
	s_and_b64 s[46:47], s[2:3], s[10:11]
	;; [unrolled: 1-line block ×3, first 2 shown]
	v_cmp_lt_i32_e64 s[2:3], -1, v10
	v_or_b32_e32 v10, v23, v50
	s_and_b64 s[2:3], vcc, s[2:3]
	v_cmp_lt_i32_e32 vcc, -1, v10
	v_or_b32_e32 v10, v25, v50
	s_and_b64 s[0:1], s[0:1], vcc
	v_cmp_lt_i32_e32 vcc, -1, v10
	v_mul_lo_u32 v10, v6, s42
	v_cmp_eq_u32_e64 s[48:49], v10, v5
	v_mul_lo_u32 v5, v7, s66
	v_add_u32_e32 v7, v4, v5
	v_mul_lo_u32 v7, v7, s67
	v_add_u32_e32 v10, v6, v7
	v_add_u32_e32 v16, v12, v7
	;; [unrolled: 1-line block ×5, first 2 shown]
	v_mul_lo_u32 v5, v5, s67
	v_mul_lo_u32 v7, v7, s67
	v_add_u32_e32 v26, v6, v5
	v_add_u32_e32 v28, v12, v5
	v_add_u32_e32 v30, v14, v5
	v_mul_lo_u32 v5, v13, s66
	v_add_u32_e32 v20, v6, v7
	v_add_u32_e32 v22, v12, v7
	;; [unrolled: 1-line block ×4, first 2 shown]
	v_mul_lo_u32 v7, v7, s67
	v_add_u32_e32 v32, v6, v7
	v_add_u32_e32 v34, v12, v7
	;; [unrolled: 1-line block ×5, first 2 shown]
	v_mul_lo_u32 v5, v5, s67
	v_add_u32_e32 v44, v6, v5
	v_add_u32_e32 v46, v12, v5
	;; [unrolled: 1-line block ×3, first 2 shown]
	v_mul_lo_u32 v5, v50, s66
	v_add_u32_e32 v4, v4, v5
	v_mul_lo_u32 v4, v4, s67
	s_and_b64 s[4:5], s[4:5], vcc
	v_cmp_gt_i32_e32 vcc, s65, v50
	v_add_u32_e32 v50, v6, v4
	v_add_u32_e32 v52, v12, v4
	;; [unrolled: 1-line block ×4, first 2 shown]
	v_mul_lo_u32 v4, v4, s67
	v_add_u32_e32 v56, v6, v4
	v_add_u32_e32 v58, v12, v4
	;; [unrolled: 1-line block ×4, first 2 shown]
	v_mul_lo_u32 v7, v7, s67
	v_mul_lo_u32 v4, v4, s67
	v_mul_lo_u32 v11, v12, s42
	v_mul_lo_u32 v15, v14, s42
	v_add_u32_e32 v38, v6, v7
	v_add_u32_e32 v40, v12, v7
	;; [unrolled: 1-line block ×6, first 2 shown]
	s_and_b64 s[2:3], s[2:3], s[8:9]
	s_and_b64 s[0:1], s[0:1], s[8:9]
	s_and_b64 s[4:5], s[4:5], s[8:9]
	v_cmp_eq_u32_e64 s[50:51], v11, v19
	v_cmp_eq_u32_e64 s[52:53], v15, v21
	v_ashrrev_i32_e32 v11, 31, v10
	v_ashrrev_i32_e32 v17, 31, v16
	;; [unrolled: 1-line block ×18, first 2 shown]
	s_mov_b32 s66, s33
	v_ashrrev_i32_e32 v51, 31, v50
	v_ashrrev_i32_e32 v53, 31, v52
	;; [unrolled: 1-line block ×9, first 2 shown]
	v_readlane_b32 s33, v126, 50
	s_and_b64 s[88:89], s[14:15], vcc
	s_and_b64 s[82:83], s[16:17], vcc
	;; [unrolled: 1-line block ×9, first 2 shown]
	s_and_b64 vcc, s[26:27], s[48:49]
	s_and_b64 s[0:1], s[26:27], s[50:51]
	s_and_b64 s[2:3], s[26:27], s[52:53]
	;; [unrolled: 1-line block ×26, first 2 shown]
	s_mov_b32 s67, 0
	v_mul_lo_u32 v4, s33, v71
	v_lshlrev_b64 v[6:7], 1, v[10:11]
	v_lshlrev_b64 v[8:9], 1, v[16:17]
	;; [unrolled: 1-line block ×27, first 2 shown]
	v_readlane_b32 s33, v126, 47
	s_branch .LBB30_6
.LBB30_5:                               ;   in Loop: Header=BB30_6 Depth=2
	s_or_b64 exec, exec, s[64:65]
	s_waitcnt vmcnt(26)
	v_lshlrev_b32_e32 v64, 16, v76
	v_fma_f32 v5, v5, v64, v75
	v_cndmask_b32_e32 v5, v75, v5, vcc
	s_waitcnt vmcnt(25)
	v_lshlrev_b32_e32 v64, 16, v79
	v_fma_f32 v64, v81, v64, v5
	v_cndmask_b32_e64 v5, v5, v64, s[0:1]
	s_waitcnt vmcnt(24)
	v_lshlrev_b32_e32 v64, 16, v82
	v_fma_f32 v64, v80, v64, v5
	v_cndmask_b32_e64 v5, v5, v64, s[2:3]
	s_waitcnt vmcnt(23)
	v_lshlrev_b32_e32 v64, 16, v83
	v_fma_f32 v64, v85, v64, v5
	v_cndmask_b32_e64 v5, v5, v64, s[4:5]
	s_waitcnt vmcnt(22)
	v_lshlrev_b32_e32 v64, 16, v86
	v_fma_f32 v64, v84, v64, v5
	v_cndmask_b32_e64 v5, v5, v64, s[6:7]
	s_waitcnt vmcnt(21)
	v_lshlrev_b32_e32 v64, 16, v87
	v_fma_f32 v64, v89, v64, v5
	v_cndmask_b32_e64 v5, v5, v64, s[8:9]
	s_waitcnt vmcnt(20)
	v_lshlrev_b32_e32 v64, 16, v90
	v_fma_f32 v64, v88, v64, v5
	v_cndmask_b32_e64 v5, v5, v64, s[10:11]
	s_waitcnt vmcnt(19)
	v_lshlrev_b32_e32 v64, 16, v91
	v_fma_f32 v64, v93, v64, v5
	v_cndmask_b32_e64 v5, v5, v64, s[12:13]
	s_waitcnt vmcnt(18)
	v_lshlrev_b32_e32 v64, 16, v94
	v_fma_f32 v64, v92, v64, v5
	v_cndmask_b32_e64 v5, v5, v64, s[14:15]
	s_waitcnt vmcnt(17)
	v_lshlrev_b32_e32 v64, 16, v95
	v_fma_f32 v64, v97, v64, v5
	v_cndmask_b32_e64 v5, v5, v64, s[16:17]
	s_waitcnt vmcnt(16)
	v_lshlrev_b32_e32 v64, 16, v98
	v_fma_f32 v64, v96, v64, v5
	v_cndmask_b32_e64 v5, v5, v64, s[18:19]
	s_waitcnt vmcnt(15)
	v_lshlrev_b32_e32 v64, 16, v99
	v_fma_f32 v64, v101, v64, v5
	v_cndmask_b32_e64 v5, v5, v64, s[20:21]
	s_waitcnt vmcnt(14)
	v_lshlrev_b32_e32 v64, 16, v102
	v_fma_f32 v64, v100, v64, v5
	v_cndmask_b32_e64 v5, v5, v64, s[22:23]
	s_waitcnt vmcnt(13)
	v_lshlrev_b32_e32 v64, 16, v103
	v_fma_f32 v64, v105, v64, v5
	v_cndmask_b32_e64 v5, v5, v64, s[24:25]
	s_waitcnt vmcnt(12)
	v_lshlrev_b32_e32 v64, 16, v106
	v_fma_f32 v64, v104, v64, v5
	v_cndmask_b32_e64 v5, v5, v64, s[26:27]
	s_waitcnt vmcnt(11)
	v_lshlrev_b32_e32 v64, 16, v107
	v_fma_f32 v64, v109, v64, v5
	v_cndmask_b32_e64 v5, v5, v64, s[28:29]
	s_waitcnt vmcnt(10)
	v_lshlrev_b32_e32 v64, 16, v110
	v_fma_f32 v64, v108, v64, v5
	v_cndmask_b32_e64 v5, v5, v64, s[30:31]
	s_waitcnt vmcnt(9)
	v_lshlrev_b32_e32 v64, 16, v111
	v_fma_f32 v64, v113, v64, v5
	v_cndmask_b32_e64 v5, v5, v64, s[34:35]
	s_waitcnt vmcnt(8)
	v_lshlrev_b32_e32 v64, 16, v114
	v_fma_f32 v64, v112, v64, v5
	v_cndmask_b32_e64 v5, v5, v64, s[36:37]
	s_waitcnt vmcnt(7)
	v_lshlrev_b32_e32 v64, 16, v115
	v_fma_f32 v64, v117, v64, v5
	v_cndmask_b32_e64 v5, v5, v64, s[38:39]
	s_waitcnt vmcnt(6)
	v_lshlrev_b32_e32 v64, 16, v118
	v_fma_f32 v64, v116, v64, v5
	v_cndmask_b32_e64 v5, v5, v64, s[40:41]
	s_waitcnt vmcnt(5)
	v_lshlrev_b32_e32 v64, 16, v119
	v_fma_f32 v64, v121, v64, v5
	v_cndmask_b32_e64 v5, v5, v64, s[42:43]
	s_waitcnt vmcnt(4)
	v_lshlrev_b32_e32 v64, 16, v122
	v_fma_f32 v64, v120, v64, v5
	v_cndmask_b32_e64 v5, v5, v64, s[44:45]
	s_waitcnt vmcnt(3)
	v_lshlrev_b32_e32 v64, 16, v123
	v_fma_f32 v64, v125, v64, v5
	v_cndmask_b32_e64 v5, v5, v64, s[46:47]
	s_waitcnt vmcnt(2)
	v_lshlrev_b32_e32 v60, 16, v60
	v_fma_f32 v60, v124, v60, v5
	v_cndmask_b32_e64 v5, v5, v60, s[48:49]
	s_waitcnt vmcnt(1)
	v_lshlrev_b32_e32 v60, 16, v61
	v_add_co_u32_e64 v2, s[54:55], 54, v2
	v_fma_f32 v60, v63, v60, v5
	v_addc_co_u32_e64 v3, s[54:55], 0, v3, s[54:55]
	v_cndmask_b32_e64 v5, v5, v60, s[50:51]
	s_waitcnt vmcnt(0)
	v_lshlrev_b32_e32 v60, 16, v67
	v_readlane_b32 s54, v126, 48
	v_fma_f32 v60, v62, v60, v5
	s_add_i32 s33, s33, -1
	v_readlane_b32 s55, v126, 49
	v_cndmask_b32_e64 v75, v5, v60, s[52:53]
	s_cmp_eq_u32 s33, 0
	v_add_u32_e32 v4, s55, v4
	s_cbranch_scc1 .LBB30_2
.LBB30_6:                               ;   Parent Loop BB30_3 Depth=1
                                        ; =>  This Inner Loop Header: Depth=2
	global_load_ushort v76, v[2:3], off
	v_ashrrev_i32_e32 v5, 31, v4
	v_lshlrev_b64 v[60:61], 1, v[4:5]
	v_add_co_u32_e64 v77, s[54:55], v73, v60
	v_addc_co_u32_e64 v78, s[54:55], v74, v61, s[54:55]
	v_mov_b32_e32 v5, 0
	s_mov_b64 s[64:65], exec
	v_readlane_b32 s54, v126, 57
	v_readlane_b32 s55, v126, 58
	s_and_b64 s[54:55], s[64:65], s[54:55]
	s_mov_b64 exec, s[54:55]
	s_cbranch_execz .LBB30_8
; %bb.7:                                ;   in Loop: Header=BB30_6 Depth=2
	v_add_co_u32_e64 v60, s[54:55], v77, v6
	v_addc_co_u32_e64 v61, s[54:55], v78, v7, s[54:55]
	global_load_ushort v5, v[60:61], off
	s_waitcnt vmcnt(0)
	v_lshlrev_b32_e32 v5, 16, v5
.LBB30_8:                               ;   in Loop: Header=BB30_6 Depth=2
	s_or_b64 exec, exec, s[64:65]
	global_load_ushort v79, v[2:3], off offset:2
	v_mov_b32_e32 v80, 0
	v_mov_b32_e32 v81, 0
	s_mov_b64 s[64:65], exec
	v_readlane_b32 s54, v126, 59
	v_readlane_b32 s55, v126, 60
	s_and_b64 s[54:55], s[64:65], s[54:55]
	s_mov_b64 exec, s[54:55]
	s_cbranch_execz .LBB30_10
; %bb.9:                                ;   in Loop: Header=BB30_6 Depth=2
	v_add_co_u32_e64 v60, s[54:55], v77, v8
	v_addc_co_u32_e64 v61, s[54:55], v78, v9, s[54:55]
	global_load_ushort v60, v[60:61], off
	s_waitcnt vmcnt(0)
	v_lshlrev_b32_e32 v81, 16, v60
.LBB30_10:                              ;   in Loop: Header=BB30_6 Depth=2
	s_or_b64 exec, exec, s[64:65]
	global_load_ushort v82, v[2:3], off offset:4
	s_mov_b64 s[64:65], exec
	v_readlane_b32 s54, v126, 61
	v_readlane_b32 s55, v126, 62
	s_and_b64 s[54:55], s[64:65], s[54:55]
	s_mov_b64 exec, s[54:55]
	s_cbranch_execz .LBB30_12
; %bb.11:                               ;   in Loop: Header=BB30_6 Depth=2
	v_add_co_u32_e64 v60, s[54:55], v77, v10
	v_addc_co_u32_e64 v61, s[54:55], v78, v11, s[54:55]
	global_load_ushort v60, v[60:61], off
	s_waitcnt vmcnt(0)
	v_lshlrev_b32_e32 v80, 16, v60
.LBB30_12:                              ;   in Loop: Header=BB30_6 Depth=2
	s_or_b64 exec, exec, s[64:65]
	global_load_ushort v83, v[2:3], off offset:6
	v_mov_b32_e32 v84, 0
	v_mov_b32_e32 v85, 0
	s_mov_b64 s[64:65], exec
	v_readlane_b32 s54, v126, 63
	v_readlane_b32 s55, v127, 0
	s_and_b64 s[54:55], s[64:65], s[54:55]
	s_mov_b64 exec, s[54:55]
	s_cbranch_execz .LBB30_14
; %bb.13:                               ;   in Loop: Header=BB30_6 Depth=2
	v_add_co_u32_e64 v60, s[54:55], v77, v12
	v_addc_co_u32_e64 v61, s[54:55], v78, v13, s[54:55]
	global_load_ushort v60, v[60:61], off
	s_waitcnt vmcnt(0)
	v_lshlrev_b32_e32 v85, 16, v60
.LBB30_14:                              ;   in Loop: Header=BB30_6 Depth=2
	s_or_b64 exec, exec, s[64:65]
	global_load_ushort v86, v[2:3], off offset:8
	s_mov_b64 s[64:65], exec
	v_readlane_b32 s54, v127, 1
	v_readlane_b32 s55, v127, 2
	s_and_b64 s[54:55], s[64:65], s[54:55]
	s_mov_b64 exec, s[54:55]
	s_cbranch_execz .LBB30_16
; %bb.15:                               ;   in Loop: Header=BB30_6 Depth=2
	v_add_co_u32_e64 v60, s[54:55], v77, v14
	v_addc_co_u32_e64 v61, s[54:55], v78, v15, s[54:55]
	global_load_ushort v60, v[60:61], off
	s_waitcnt vmcnt(0)
	v_lshlrev_b32_e32 v84, 16, v60
.LBB30_16:                              ;   in Loop: Header=BB30_6 Depth=2
	s_or_b64 exec, exec, s[64:65]
	global_load_ushort v87, v[2:3], off offset:10
	v_mov_b32_e32 v88, 0
	v_mov_b32_e32 v89, 0
	s_mov_b64 s[64:65], exec
	v_readlane_b32 s54, v127, 3
	v_readlane_b32 s55, v127, 4
	s_and_b64 s[54:55], s[64:65], s[54:55]
	s_mov_b64 exec, s[54:55]
	s_cbranch_execz .LBB30_18
; %bb.17:                               ;   in Loop: Header=BB30_6 Depth=2
	v_add_co_u32_e64 v60, s[54:55], v77, v16
	v_addc_co_u32_e64 v61, s[54:55], v78, v17, s[54:55]
	global_load_ushort v60, v[60:61], off
	s_waitcnt vmcnt(0)
	v_lshlrev_b32_e32 v89, 16, v60
.LBB30_18:                              ;   in Loop: Header=BB30_6 Depth=2
	;; [unrolled: 32-line block ×3, first 2 shown]
	s_or_b64 exec, exec, s[64:65]
	global_load_ushort v94, v[2:3], off offset:16
	s_mov_b64 s[64:65], exec
	v_readlane_b32 s54, v127, 9
	v_readlane_b32 s55, v127, 10
	s_and_b64 s[54:55], s[64:65], s[54:55]
	s_mov_b64 exec, s[54:55]
	s_cbranch_execz .LBB30_24
; %bb.23:                               ;   in Loop: Header=BB30_6 Depth=2
	v_add_co_u32_e64 v60, s[54:55], v77, v22
	v_addc_co_u32_e64 v61, s[54:55], v78, v23, s[54:55]
	global_load_ushort v60, v[60:61], off
	s_waitcnt vmcnt(0)
	v_lshlrev_b32_e32 v92, 16, v60
.LBB30_24:                              ;   in Loop: Header=BB30_6 Depth=2
	s_or_b64 exec, exec, s[64:65]
	global_load_ushort v95, v[2:3], off offset:18
	v_mov_b32_e32 v96, 0
	v_mov_b32_e32 v97, 0
	s_and_saveexec_b64 s[64:65], s[72:73]
	s_cbranch_execz .LBB30_26
; %bb.25:                               ;   in Loop: Header=BB30_6 Depth=2
	v_add_co_u32_e64 v60, s[54:55], v77, v24
	v_addc_co_u32_e64 v61, s[54:55], v78, v25, s[54:55]
	global_load_ushort v60, v[60:61], off
	s_waitcnt vmcnt(0)
	v_lshlrev_b32_e32 v97, 16, v60
.LBB30_26:                              ;   in Loop: Header=BB30_6 Depth=2
	s_or_b64 exec, exec, s[64:65]
	global_load_ushort v98, v[2:3], off offset:20
	s_and_saveexec_b64 s[64:65], s[74:75]
	s_cbranch_execz .LBB30_28
; %bb.27:                               ;   in Loop: Header=BB30_6 Depth=2
	v_add_co_u32_e64 v60, s[54:55], v77, v26
	v_addc_co_u32_e64 v61, s[54:55], v78, v27, s[54:55]
	global_load_ushort v60, v[60:61], off
	s_waitcnt vmcnt(0)
	v_lshlrev_b32_e32 v96, 16, v60
.LBB30_28:                              ;   in Loop: Header=BB30_6 Depth=2
	s_or_b64 exec, exec, s[64:65]
	global_load_ushort v99, v[2:3], off offset:22
	v_mov_b32_e32 v100, 0
	v_mov_b32_e32 v101, 0
	s_and_saveexec_b64 s[64:65], s[56:57]
	s_cbranch_execz .LBB30_30
; %bb.29:                               ;   in Loop: Header=BB30_6 Depth=2
	v_add_co_u32_e64 v60, s[54:55], v77, v28
	v_addc_co_u32_e64 v61, s[54:55], v78, v29, s[54:55]
	global_load_ushort v60, v[60:61], off
	s_waitcnt vmcnt(0)
	v_lshlrev_b32_e32 v101, 16, v60
.LBB30_30:                              ;   in Loop: Header=BB30_6 Depth=2
	s_or_b64 exec, exec, s[64:65]
	global_load_ushort v102, v[2:3], off offset:24
	s_and_saveexec_b64 s[64:65], s[58:59]
	;; [unrolled: 24-line block ×9, first 2 shown]
	s_cbranch_execz .LBB30_5
; %bb.59:                               ;   in Loop: Header=BB30_6 Depth=2
	v_add_co_u32_e64 v64, s[54:55], v77, v58
	v_addc_co_u32_e64 v65, s[54:55], v78, v59, s[54:55]
	global_load_ushort v62, v[64:65], off
	s_waitcnt vmcnt(0)
	v_lshlrev_b32_e32 v62, 16, v62
	s_branch .LBB30_5
.LBB30_60:
	s_endpgm
	.section	.rodata,"a",@progbits
	.p2align	6, 0x0
	.amdhsa_kernel _ZN2at6native12_GLOBAL__N_143conv_depthwise3d_cuda_backward_input_kernelIN3c108BFloat16EfLi3ELi3ELi3ELin1ELin1ELin1ELin1ELin1ELin1EEEvN5torch10headeronly6detail27GenericPackedTensorAccessorINS7_14TensorAccessorINS3_8ArrayRefIlEEKT_Lm4ENS6_16DefaultPtrTraitsEiEENS_6detail16IndexBoundsCheckILm5EiEESD_Lm5ESE_iEENS8_INS9_ISB_SC_Lm4ESE_iEESI_SC_Lm5ESE_iEESJ_iiiiiiiii
		.amdhsa_group_segment_fixed_size 0
		.amdhsa_private_segment_fixed_size 28
		.amdhsa_kernarg_size 440
		.amdhsa_user_sgpr_count 6
		.amdhsa_user_sgpr_private_segment_buffer 1
		.amdhsa_user_sgpr_dispatch_ptr 0
		.amdhsa_user_sgpr_queue_ptr 0
		.amdhsa_user_sgpr_kernarg_segment_ptr 1
		.amdhsa_user_sgpr_dispatch_id 0
		.amdhsa_user_sgpr_flat_scratch_init 0
		.amdhsa_user_sgpr_kernarg_preload_length 0
		.amdhsa_user_sgpr_kernarg_preload_offset 0
		.amdhsa_user_sgpr_private_segment_size 0
		.amdhsa_uses_dynamic_stack 0
		.amdhsa_system_sgpr_private_segment_wavefront_offset 1
		.amdhsa_system_sgpr_workgroup_id_x 1
		.amdhsa_system_sgpr_workgroup_id_y 0
		.amdhsa_system_sgpr_workgroup_id_z 0
		.amdhsa_system_sgpr_workgroup_info 0
		.amdhsa_system_vgpr_workitem_id 0
		.amdhsa_next_free_vgpr 128
		.amdhsa_next_free_sgpr 100
		.amdhsa_accum_offset 128
		.amdhsa_reserve_vcc 1
		.amdhsa_reserve_flat_scratch 0
		.amdhsa_float_round_mode_32 0
		.amdhsa_float_round_mode_16_64 0
		.amdhsa_float_denorm_mode_32 3
		.amdhsa_float_denorm_mode_16_64 3
		.amdhsa_dx10_clamp 1
		.amdhsa_ieee_mode 1
		.amdhsa_fp16_overflow 0
		.amdhsa_tg_split 0
		.amdhsa_exception_fp_ieee_invalid_op 0
		.amdhsa_exception_fp_denorm_src 0
		.amdhsa_exception_fp_ieee_div_zero 0
		.amdhsa_exception_fp_ieee_overflow 0
		.amdhsa_exception_fp_ieee_underflow 0
		.amdhsa_exception_fp_ieee_inexact 0
		.amdhsa_exception_int_div_zero 0
	.end_amdhsa_kernel
	.section	.text._ZN2at6native12_GLOBAL__N_143conv_depthwise3d_cuda_backward_input_kernelIN3c108BFloat16EfLi3ELi3ELi3ELin1ELin1ELin1ELin1ELin1ELin1EEEvN5torch10headeronly6detail27GenericPackedTensorAccessorINS7_14TensorAccessorINS3_8ArrayRefIlEEKT_Lm4ENS6_16DefaultPtrTraitsEiEENS_6detail16IndexBoundsCheckILm5EiEESD_Lm5ESE_iEENS8_INS9_ISB_SC_Lm4ESE_iEESI_SC_Lm5ESE_iEESJ_iiiiiiiii,"axG",@progbits,_ZN2at6native12_GLOBAL__N_143conv_depthwise3d_cuda_backward_input_kernelIN3c108BFloat16EfLi3ELi3ELi3ELin1ELin1ELin1ELin1ELin1ELin1EEEvN5torch10headeronly6detail27GenericPackedTensorAccessorINS7_14TensorAccessorINS3_8ArrayRefIlEEKT_Lm4ENS6_16DefaultPtrTraitsEiEENS_6detail16IndexBoundsCheckILm5EiEESD_Lm5ESE_iEENS8_INS9_ISB_SC_Lm4ESE_iEESI_SC_Lm5ESE_iEESJ_iiiiiiiii,comdat
.Lfunc_end30:
	.size	_ZN2at6native12_GLOBAL__N_143conv_depthwise3d_cuda_backward_input_kernelIN3c108BFloat16EfLi3ELi3ELi3ELin1ELin1ELin1ELin1ELin1ELin1EEEvN5torch10headeronly6detail27GenericPackedTensorAccessorINS7_14TensorAccessorINS3_8ArrayRefIlEEKT_Lm4ENS6_16DefaultPtrTraitsEiEENS_6detail16IndexBoundsCheckILm5EiEESD_Lm5ESE_iEENS8_INS9_ISB_SC_Lm4ESE_iEESI_SC_Lm5ESE_iEESJ_iiiiiiiii, .Lfunc_end30-_ZN2at6native12_GLOBAL__N_143conv_depthwise3d_cuda_backward_input_kernelIN3c108BFloat16EfLi3ELi3ELi3ELin1ELin1ELin1ELin1ELin1ELin1EEEvN5torch10headeronly6detail27GenericPackedTensorAccessorINS7_14TensorAccessorINS3_8ArrayRefIlEEKT_Lm4ENS6_16DefaultPtrTraitsEiEENS_6detail16IndexBoundsCheckILm5EiEESD_Lm5ESE_iEENS8_INS9_ISB_SC_Lm4ESE_iEESI_SC_Lm5ESE_iEESJ_iiiiiiiii
                                        ; -- End function
	.section	.AMDGPU.csdata,"",@progbits
; Kernel info:
; codeLenInByte = 7372
; NumSgprs: 104
; NumVgprs: 128
; NumAgprs: 0
; TotalNumVgprs: 128
; ScratchSize: 28
; MemoryBound: 0
; FloatMode: 240
; IeeeMode: 1
; LDSByteSize: 0 bytes/workgroup (compile time only)
; SGPRBlocks: 12
; VGPRBlocks: 15
; NumSGPRsForWavesPerEU: 104
; NumVGPRsForWavesPerEU: 128
; AccumOffset: 128
; Occupancy: 4
; WaveLimiterHint : 0
; COMPUTE_PGM_RSRC2:SCRATCH_EN: 1
; COMPUTE_PGM_RSRC2:USER_SGPR: 6
; COMPUTE_PGM_RSRC2:TRAP_HANDLER: 0
; COMPUTE_PGM_RSRC2:TGID_X_EN: 1
; COMPUTE_PGM_RSRC2:TGID_Y_EN: 0
; COMPUTE_PGM_RSRC2:TGID_Z_EN: 0
; COMPUTE_PGM_RSRC2:TIDIG_COMP_CNT: 0
; COMPUTE_PGM_RSRC3_GFX90A:ACCUM_OFFSET: 31
; COMPUTE_PGM_RSRC3_GFX90A:TG_SPLIT: 0
	.section	.text._ZN2at6native12_GLOBAL__N_143conv_depthwise3d_cuda_backward_input_kernelIN3c108BFloat16EfLin1ELin1ELin1ELin1ELin1ELin1ELin1ELin1ELin1EEEvN5torch10headeronly6detail27GenericPackedTensorAccessorINS7_14TensorAccessorINS3_8ArrayRefIlEEKT_Lm4ENS6_16DefaultPtrTraitsEiEENS_6detail16IndexBoundsCheckILm5EiEESD_Lm5ESE_iEENS8_INS9_ISB_SC_Lm4ESE_iEESI_SC_Lm5ESE_iEESJ_iiiiiiiii,"axG",@progbits,_ZN2at6native12_GLOBAL__N_143conv_depthwise3d_cuda_backward_input_kernelIN3c108BFloat16EfLin1ELin1ELin1ELin1ELin1ELin1ELin1ELin1ELin1EEEvN5torch10headeronly6detail27GenericPackedTensorAccessorINS7_14TensorAccessorINS3_8ArrayRefIlEEKT_Lm4ENS6_16DefaultPtrTraitsEiEENS_6detail16IndexBoundsCheckILm5EiEESD_Lm5ESE_iEENS8_INS9_ISB_SC_Lm4ESE_iEESI_SC_Lm5ESE_iEESJ_iiiiiiiii,comdat
	.globl	_ZN2at6native12_GLOBAL__N_143conv_depthwise3d_cuda_backward_input_kernelIN3c108BFloat16EfLin1ELin1ELin1ELin1ELin1ELin1ELin1ELin1ELin1EEEvN5torch10headeronly6detail27GenericPackedTensorAccessorINS7_14TensorAccessorINS3_8ArrayRefIlEEKT_Lm4ENS6_16DefaultPtrTraitsEiEENS_6detail16IndexBoundsCheckILm5EiEESD_Lm5ESE_iEENS8_INS9_ISB_SC_Lm4ESE_iEESI_SC_Lm5ESE_iEESJ_iiiiiiiii ; -- Begin function _ZN2at6native12_GLOBAL__N_143conv_depthwise3d_cuda_backward_input_kernelIN3c108BFloat16EfLin1ELin1ELin1ELin1ELin1ELin1ELin1ELin1ELin1EEEvN5torch10headeronly6detail27GenericPackedTensorAccessorINS7_14TensorAccessorINS3_8ArrayRefIlEEKT_Lm4ENS6_16DefaultPtrTraitsEiEENS_6detail16IndexBoundsCheckILm5EiEESD_Lm5ESE_iEENS8_INS9_ISB_SC_Lm4ESE_iEESI_SC_Lm5ESE_iEESJ_iiiiiiiii
	.p2align	8
	.type	_ZN2at6native12_GLOBAL__N_143conv_depthwise3d_cuda_backward_input_kernelIN3c108BFloat16EfLin1ELin1ELin1ELin1ELin1ELin1ELin1ELin1ELin1EEEvN5torch10headeronly6detail27GenericPackedTensorAccessorINS7_14TensorAccessorINS3_8ArrayRefIlEEKT_Lm4ENS6_16DefaultPtrTraitsEiEENS_6detail16IndexBoundsCheckILm5EiEESD_Lm5ESE_iEENS8_INS9_ISB_SC_Lm4ESE_iEESI_SC_Lm5ESE_iEESJ_iiiiiiiii,@function
_ZN2at6native12_GLOBAL__N_143conv_depthwise3d_cuda_backward_input_kernelIN3c108BFloat16EfLin1ELin1ELin1ELin1ELin1ELin1ELin1ELin1ELin1EEEvN5torch10headeronly6detail27GenericPackedTensorAccessorINS7_14TensorAccessorINS3_8ArrayRefIlEEKT_Lm4ENS6_16DefaultPtrTraitsEiEENS_6detail16IndexBoundsCheckILm5EiEESD_Lm5ESE_iEENS8_INS9_ISB_SC_Lm4ESE_iEESI_SC_Lm5ESE_iEESJ_iiiiiiiii: ; @_ZN2at6native12_GLOBAL__N_143conv_depthwise3d_cuda_backward_input_kernelIN3c108BFloat16EfLin1ELin1ELin1ELin1ELin1ELin1ELin1ELin1ELin1EEEvN5torch10headeronly6detail27GenericPackedTensorAccessorINS7_14TensorAccessorINS3_8ArrayRefIlEEKT_Lm4ENS6_16DefaultPtrTraitsEiEENS_6detail16IndexBoundsCheckILm5EiEESD_Lm5ESE_iEENS8_INS9_ISB_SC_Lm4ESE_iEESI_SC_Lm5ESE_iEESJ_iiiiiiiii
; %bb.0:
	s_load_dwordx4 s[20:23], s[4:5], 0x38
	s_load_dwordx2 s[10:11], s[4:5], 0x48
	s_load_dword s2, s[4:5], 0xc4
	v_mov_b32_e32 v1, 0
	v_mov_b32_e32 v3, s6
	s_waitcnt lgkmcnt(0)
	s_abs_i32 s33, s21
	v_cvt_f32_u32_e32 v2, s33
	s_add_u32 s0, s4, 0xb8
	s_mul_i32 s34, s11, s20
	s_addc_u32 s1, s5, 0
	v_rcp_iflag_f32_e32 v2, v2
	s_and_b32 s2, s2, 0xffff
	s_ashr_i32 s35, s34, 31
	v_mad_u64_u32 v[0:1], s[6:7], s2, v3, v[0:1]
	v_mul_f32_e32 v2, 0x4f7ffffe, v2
	v_cvt_u32_f32_e32 v2, v2
	v_cmp_gt_i64_e32 vcc, s[34:35], v[0:1]
	v_readfirstlane_b32 s3, v2
	s_and_saveexec_b64 s[6:7], vcc
	s_cbranch_execz .LBB31_18
; %bb.1:
	s_load_dwordx4 s[24:27], s[4:5], 0xc
	s_load_dwordx2 s[40:41], s[4:5], 0x0
	s_sub_i32 s8, 0, s33
	s_mul_i32 s9, s8, s3
	s_mul_hi_u32 s9, s3, s9
	s_waitcnt lgkmcnt(0)
	s_abs_i32 s7, s24
	s_add_i32 s3, s3, s9
	s_mul_hi_u32 s3, s7, s3
	s_mul_i32 s9, s3, s33
	s_ashr_i32 s20, s21, 31
	s_ashr_i32 s6, s24, 31
	s_sub_i32 s7, s7, s9
	s_xor_b32 s6, s6, s20
	s_add_i32 s9, s3, 1
	s_sub_i32 s28, s7, s33
	s_cmp_ge_u32 s7, s33
	s_cselect_b32 s3, s9, s3
	s_cselect_b32 s7, s28, s7
	s_add_i32 s9, s3, 1
	s_load_dwordx4 s[28:31], s[4:5], 0x70
	s_load_dword s65, s[4:5], 0x7c
	s_cmp_ge_u32 s7, s33
	s_cselect_b32 s3, s9, s3
	s_xor_b32 s3, s3, s6
	s_waitcnt lgkmcnt(0)
	s_sub_i32 s31, s3, s6
	s_cmp_gt_i32 s28, 0
	s_cselect_b64 s[42:43], -1, 0
	s_cmp_gt_i32 s29, 0
	s_cselect_b64 s[44:45], -1, 0
	s_cmp_gt_i32 s30, 0
	s_cselect_b64 s[46:47], -1, 0
	s_abs_i32 s66, s10
	v_cvt_f32_u32_e32 v3, s66
	s_abs_i32 s69, s23
	v_cvt_f32_u32_e32 v4, s69
	s_load_dwordx8 s[12:19], s[4:5], 0x90
	s_load_dword s24, s[4:5], 0xb0
	v_rcp_iflag_f32_e32 v3, v3
	s_load_dword s3, s[0:1], 0x0
	s_load_dwordx2 s[48:49], s[4:5], 0x1c
	s_load_dwordx2 s[50:51], s[4:5], 0x30
	s_sub_i32 s0, 0, s66
	s_abs_i32 s70, s22
	v_mul_f32_e32 v3, 0x4f7ffffe, v3
	v_cvt_u32_f32_e32 v3, v3
	v_rcp_iflag_f32_e32 v6, v4
	s_waitcnt lgkmcnt(0)
	s_abs_i32 s73, s12
	v_cvt_f32_u32_e32 v7, s73
	v_mul_lo_u32 v5, s0, v3
	v_mul_hi_u32 v5, v3, v5
	v_add_u32_e32 v4, v3, v5
	v_cvt_f32_u32_e32 v3, s70
	v_mul_f32_e32 v5, 0x4f7ffffe, v6
	v_cvt_u32_f32_e32 v5, v5
	s_sub_i32 s0, 0, s69
	v_rcp_iflag_f32_e32 v3, v3
	v_rcp_iflag_f32_e32 v8, v7
	v_mul_lo_u32 v6, s0, v5
	v_mul_hi_u32 v6, v5, v6
	v_mul_f32_e32 v3, 0x4f7ffffe, v3
	v_cvt_u32_f32_e32 v3, v3
	s_sub_i32 s0, 0, s70
	v_add_u32_e32 v5, v5, v6
	s_abs_i32 s75, s13
	v_mul_lo_u32 v6, s0, v3
	v_mul_hi_u32 v6, v3, v6
	v_add_u32_e32 v6, v3, v6
	v_mul_lo_u32 v3, s8, v2
	v_mul_hi_u32 v3, v2, v3
	v_add_u32_e32 v7, v2, v3
	v_mul_f32_e32 v2, 0x4f7ffffe, v8
	v_cvt_u32_f32_e32 v2, v2
	s_sub_i32 s0, 0, s73
	v_cvt_f32_u32_e32 v3, s75
	s_abs_i32 s76, s14
	v_mul_lo_u32 v8, s0, v2
	v_mul_hi_u32 v8, v2, v8
	v_add_u32_e32 v8, v2, v8
	v_cvt_f32_u32_e32 v2, s76
	v_rcp_iflag_f32_e32 v3, v3
	s_sub_i32 s0, 0, s75
	s_load_dwordx2 s[52:53], s[4:5], 0x60
	s_load_dwordx4 s[36:39], s[4:5], 0x50
	v_rcp_iflag_f32_e32 v2, v2
	v_mul_f32_e32 v3, 0x4f7ffffe, v3
	v_cvt_u32_f32_e32 v3, v3
	s_mov_b32 s64, 0
	v_mul_f32_e32 v2, 0x4f7ffffe, v2
	v_cvt_u32_f32_e32 v2, v2
	v_mul_lo_u32 v9, s0, v3
	v_mul_hi_u32 v9, v3, v9
	s_sub_i32 s0, 0, s76
	v_add_u32_e32 v9, v3, v9
	v_mul_lo_u32 v3, s0, v2
	v_mul_hi_u32 v3, v2, v3
	s_mul_i32 s67, s3, s2
	s_ashr_i32 s68, s10, 31
	s_ashr_i32 s71, s23, 31
	;; [unrolled: 1-line block ×6, first 2 shown]
	v_add_u32_e32 v10, v2, v3
	s_mov_b64 s[54:55], 0
	s_movk_i32 s79, 0x7fff
	v_mov_b32_e32 v11, 0x7fc0
	s_branch .LBB31_4
.LBB31_2:                               ;   in Loop: Header=BB31_4 Depth=1
	s_or_b64 exec, exec, s[58:59]
.LBB31_3:                               ;   in Loop: Header=BB31_4 Depth=1
	s_or_b64 exec, exec, s[56:57]
	v_bfe_u32 v2, v22, 16, 1
	v_add3_u32 v2, v22, v2, s79
	v_lshrrev_b32_e32 v2, 16, v2
	v_cmp_o_f32_e32 vcc, v22, v22
	v_cndmask_b32_e32 v17, v11, v2, vcc
	v_mul_lo_u32 v2, v16, s11
	v_ashrrev_i32_e32 v3, 31, v2
	v_lshlrev_b64 v[2:3], 1, v[2:3]
	v_mov_b32_e32 v16, s51
	v_add_co_u32_e32 v18, vcc, s50, v2
	s_waitcnt lgkmcnt(0)
	v_mul_lo_u32 v2, s36, v15
	v_addc_co_u32_e32 v16, vcc, v16, v3, vcc
	v_ashrrev_i32_e32 v3, 31, v2
	v_lshlrev_b64 v[2:3], 1, v[2:3]
	v_add_co_u32_e32 v15, vcc, v18, v2
	v_mul_lo_u32 v2, s37, v14
	v_addc_co_u32_e32 v16, vcc, v16, v3, vcc
	v_ashrrev_i32_e32 v3, 31, v2
	v_lshlrev_b64 v[2:3], 1, v[2:3]
	v_add_co_u32_e32 v14, vcc, v15, v2
	;; [unrolled: 5-line block ×4, first 2 shown]
	v_addc_co_u32_e32 v3, vcc, v14, v3, vcc
	v_mov_b32_e32 v12, s64
	v_add_co_u32_e32 v0, vcc, s67, v0
	v_addc_co_u32_e32 v1, vcc, v1, v12, vcc
	v_cmp_le_i64_e32 vcc, s[34:35], v[0:1]
	s_or_b64 s[54:55], vcc, s[54:55]
	global_store_short v[2:3], v17, off
	s_andn2_b64 exec, exec, s[54:55]
	s_cbranch_execz .LBB31_18
.LBB31_4:                               ; =>This Loop Header: Depth=1
                                        ;     Child Loop BB31_7 Depth 2
                                        ;       Child Loop BB31_10 Depth 3
                                        ;         Child Loop BB31_13 Depth 4
                                        ;           Child Loop BB31_16 Depth 5
	v_sub_u32_e32 v3, 0, v0
	v_max_i32_e32 v3, v0, v3
	v_mul_hi_u32 v12, v3, v4
	v_mul_lo_u32 v13, v12, s66
	v_sub_u32_e32 v3, v3, v13
	v_add_u32_e32 v13, 1, v12
	v_cmp_le_u32_e32 vcc, s66, v3
	v_cndmask_b32_e32 v12, v12, v13, vcc
	v_subrev_u32_e32 v13, s66, v3
	v_cndmask_b32_e32 v3, v3, v13, vcc
	v_ashrrev_i32_e32 v2, 31, v0
	v_add_u32_e32 v13, 1, v12
	v_cmp_le_u32_e32 vcc, s66, v3
	v_xor_b32_e32 v2, s68, v2
	v_cndmask_b32_e32 v3, v12, v13, vcc
	v_xor_b32_e32 v3, v3, v2
	v_sub_u32_e32 v2, v3, v2
	v_sub_u32_e32 v13, 0, v2
	v_max_i32_e32 v13, v2, v13
	v_mul_hi_u32 v14, v13, v5
	v_mul_lo_u32 v15, v14, s69
	v_sub_u32_e32 v13, v13, v15
	v_add_u32_e32 v15, 1, v14
	v_cmp_le_u32_e32 vcc, s69, v13
	v_cndmask_b32_e32 v14, v14, v15, vcc
	v_subrev_u32_e32 v15, s69, v13
	v_mul_lo_u32 v3, v2, s10
	v_cndmask_b32_e32 v13, v13, v15, vcc
	v_sub_u32_e32 v12, v0, v3
	v_ashrrev_i32_e32 v3, 31, v2
	v_add_u32_e32 v15, 1, v14
	v_cmp_le_u32_e32 vcc, s69, v13
	v_xor_b32_e32 v3, s71, v3
	v_cndmask_b32_e32 v13, v14, v15, vcc
	v_xor_b32_e32 v13, v13, v3
	v_sub_u32_e32 v3, v13, v3
	v_sub_u32_e32 v14, 0, v3
	v_max_i32_e32 v14, v3, v14
	v_mul_hi_u32 v15, v14, v6
	v_mul_lo_u32 v16, v15, s70
	v_sub_u32_e32 v14, v14, v16
	v_add_u32_e32 v16, 1, v15
	v_cmp_le_u32_e32 vcc, s70, v14
	v_cndmask_b32_e32 v15, v15, v16, vcc
	v_subrev_u32_e32 v16, s70, v14
	v_mul_lo_u32 v13, v3, s23
	v_cndmask_b32_e32 v14, v14, v16, vcc
	v_sub_u32_e32 v13, v2, v13
	;; [unrolled: 19-line block ×3, first 2 shown]
	v_ashrrev_i32_e32 v3, 31, v2
	v_add_u32_e32 v17, 1, v16
	v_cmp_le_u32_e32 vcc, s33, v15
	v_xor_b32_e32 v3, s20, v3
	v_cndmask_b32_e32 v15, v16, v17, vcc
	v_xor_b32_e32 v15, v15, v3
	v_sub_u32_e32 v16, v15, v3
	v_mul_lo_u32 v3, v16, s21
	v_sub_u32_e32 v15, v2, v3
	v_mul_lo_u32 v17, v15, s31
	v_add_u32_e32 v18, s31, v17
	v_cmp_lt_i32_e32 vcc, v17, v18
	v_mov_b32_e32 v22, 0
	s_and_saveexec_b64 s[56:57], vcc
	s_cbranch_execz .LBB31_3
; %bb.5:                                ;   in Loop: Header=BB31_4 Depth=1
	v_mul_lo_u32 v2, s65, v17
	v_ashrrev_i32_e32 v3, 31, v2
	v_lshlrev_b64 v[2:3], 1, v[2:3]
	s_waitcnt lgkmcnt(0)
	v_mov_b32_e32 v22, s53
	v_add_co_u32_e32 v2, vcc, s52, v2
	v_addc_co_u32_e32 v3, vcc, v22, v3, vcc
	v_mul_lo_u32 v22, s48, v16
	v_ashrrev_i32_e32 v23, 31, v22
	v_lshlrev_b64 v[24:25], 1, v[22:23]
	v_mov_b32_e32 v22, s41
	v_add_co_u32_e32 v23, vcc, s40, v24
	v_add_u32_e32 v19, s17, v12
	v_add_u32_e32 v20, s16, v13
	;; [unrolled: 1-line block ×3, first 2 shown]
	v_addc_co_u32_e32 v24, vcc, v22, v25, vcc
	s_mov_b64 s[58:59], 0
	v_mov_b32_e32 v22, 0
	s_branch .LBB31_7
.LBB31_6:                               ;   in Loop: Header=BB31_7 Depth=2
	v_add_u32_e32 v17, 1, v17
	v_cmp_eq_u32_e32 vcc, v17, v18
	s_or_b64 s[58:59], vcc, s[58:59]
	s_andn2_b64 exec, exec, s[58:59]
	s_cbranch_execz .LBB31_2
.LBB31_7:                               ;   Parent Loop BB31_4 Depth=1
                                        ; =>  This Loop Header: Depth=2
                                        ;       Child Loop BB31_10 Depth 3
                                        ;         Child Loop BB31_13 Depth 4
                                        ;           Child Loop BB31_16 Depth 5
	s_andn2_b64 vcc, exec, s[42:43]
	s_cbranch_vccnz .LBB31_6
; %bb.8:                                ;   in Loop: Header=BB31_7 Depth=2
	v_mul_lo_u32 v26, s49, v17
	v_ashrrev_i32_e32 v27, 31, v26
	v_lshlrev_b64 v[26:27], 1, v[26:27]
	v_add_co_u32_e32 v25, vcc, v23, v26
	v_addc_co_u32_e32 v26, vcc, v24, v27, vcc
	s_mov_b32 s80, 0
	s_branch .LBB31_10
.LBB31_9:                               ;   in Loop: Header=BB31_10 Depth=3
	s_add_i32 s80, s80, 1
	s_cmp_eq_u32 s80, s28
	s_cbranch_scc1 .LBB31_6
.LBB31_10:                              ;   Parent Loop BB31_4 Depth=1
                                        ;     Parent Loop BB31_7 Depth=2
                                        ; =>    This Loop Header: Depth=3
                                        ;         Child Loop BB31_13 Depth 4
                                        ;           Child Loop BB31_16 Depth 5
	s_andn2_b64 vcc, exec, s[44:45]
	s_cbranch_vccnz .LBB31_9
; %bb.11:                               ;   in Loop: Header=BB31_10 Depth=3
	s_mul_i32 s0, s80, s18
	v_subrev_u32_e32 v28, s0, v21
	v_sub_u32_e32 v29, 0, v28
	v_max_i32_e32 v29, v28, v29
	v_mul_hi_u32 v30, v29, v8
	v_mul_lo_u32 v31, v30, s73
	v_sub_u32_e32 v29, v29, v31
	v_add_u32_e32 v31, 1, v30
	v_cmp_le_u32_e32 vcc, s73, v29
	v_cndmask_b32_e32 v30, v30, v31, vcc
	v_subrev_u32_e32 v31, s73, v29
	v_cndmask_b32_e32 v29, v29, v31, vcc
	v_ashrrev_i32_e32 v27, 31, v28
	v_add_u32_e32 v31, 1, v30
	v_cmp_le_u32_e32 vcc, s73, v29
	v_xor_b32_e32 v27, s74, v27
	v_cndmask_b32_e32 v29, v30, v31, vcc
	v_xor_b32_e32 v29, v29, v27
	v_sub_u32_e32 v29, v29, v27
	v_cmp_lt_i32_e64 s[0:1], -1, v29
	v_cmp_gt_i32_e64 s[2:3], s25, v29
	v_mul_lo_u32 v27, v29, s26
	v_mul_lo_u32 v29, v29, s12
	s_mov_b32 s81, 0
	v_cmp_eq_u32_e64 s[4:5], v29, v28
	s_branch .LBB31_13
.LBB31_12:                              ;   in Loop: Header=BB31_13 Depth=4
	s_add_i32 s81, s81, 1
	s_cmp_eq_u32 s81, s29
	s_cbranch_scc1 .LBB31_9
.LBB31_13:                              ;   Parent Loop BB31_4 Depth=1
                                        ;     Parent Loop BB31_7 Depth=2
                                        ;       Parent Loop BB31_10 Depth=3
                                        ; =>      This Loop Header: Depth=4
                                        ;           Child Loop BB31_16 Depth 5
	s_andn2_b64 vcc, exec, s[46:47]
	s_cbranch_vccnz .LBB31_12
; %bb.14:                               ;   in Loop: Header=BB31_13 Depth=4
	s_mul_i32 s6, s81, s19
	v_subrev_u32_e32 v29, s6, v20
	v_sub_u32_e32 v30, 0, v29
	v_max_i32_e32 v30, v29, v30
	v_mul_hi_u32 v31, v30, v9
	v_mul_lo_u32 v32, v31, s75
	v_sub_u32_e32 v30, v30, v32
	v_add_u32_e32 v32, 1, v31
	v_cmp_le_u32_e32 vcc, s75, v30
	v_cndmask_b32_e32 v31, v31, v32, vcc
	v_subrev_u32_e32 v32, s75, v30
	v_cndmask_b32_e32 v30, v30, v32, vcc
	v_ashrrev_i32_e32 v28, 31, v29
	v_add_u32_e32 v32, 1, v31
	v_cmp_le_u32_e32 vcc, s75, v30
	v_xor_b32_e32 v28, s77, v28
	v_cndmask_b32_e32 v30, v31, v32, vcc
	v_xor_b32_e32 v30, v30, v28
	v_sub_u32_e32 v30, v30, v28
	v_cmp_lt_i32_e32 vcc, -1, v30
	v_cmp_gt_i32_e64 s[6:7], s26, v30
	v_add_u32_e32 v28, v30, v27
	v_mul_lo_u32 v30, v30, s13
	v_cmp_eq_u32_e64 s[8:9], v30, v29
	v_mul_lo_u32 v28, v28, s27
	s_and_b64 s[60:61], s[4:5], s[8:9]
	s_mov_b32 s82, s30
	v_mov_b32_e32 v29, v19
	s_branch .LBB31_16
.LBB31_15:                              ;   in Loop: Header=BB31_16 Depth=5
	s_or_b64 exec, exec, s[62:63]
	v_add_co_u32_e64 v2, s[8:9], 2, v2
	v_addc_co_u32_e64 v3, s[8:9], 0, v3, s[8:9]
	v_mul_lo_u32 v31, v31, s14
	s_waitcnt vmcnt(0)
	v_lshlrev_b32_e32 v30, 16, v30
	v_cmp_eq_u32_e64 s[8:9], v29, v31
	v_fma_f32 v30, v32, v30, v22
	s_and_b64 s[8:9], s[60:61], s[8:9]
	s_add_i32 s82, s82, -1
	v_cndmask_b32_e64 v22, v22, v30, s[8:9]
	s_cmp_eq_u32 s82, 0
	v_subrev_u32_e32 v29, s24, v29
	s_cbranch_scc1 .LBB31_12
.LBB31_16:                              ;   Parent Loop BB31_4 Depth=1
                                        ;     Parent Loop BB31_7 Depth=2
                                        ;       Parent Loop BB31_10 Depth=3
                                        ;         Parent Loop BB31_13 Depth=4
                                        ; =>        This Inner Loop Header: Depth=5
	global_load_ushort v30, v[2:3], off
	v_sub_u32_e32 v32, 0, v29
	v_max_i32_e32 v32, v29, v32
	v_mul_hi_u32 v33, v32, v10
	v_mul_lo_u32 v34, v33, s76
	v_sub_u32_e32 v32, v32, v34
	v_add_u32_e32 v34, 1, v33
	v_cmp_le_u32_e64 s[8:9], s76, v32
	v_cndmask_b32_e64 v33, v33, v34, s[8:9]
	v_subrev_u32_e32 v34, s76, v32
	v_cndmask_b32_e64 v32, v32, v34, s[8:9]
	v_ashrrev_i32_e32 v31, 31, v29
	v_add_u32_e32 v34, 1, v33
	v_cmp_le_u32_e64 s[8:9], s76, v32
	v_xor_b32_e32 v31, s78, v31
	v_cndmask_b32_e64 v32, v33, v34, s[8:9]
	v_xor_b32_e32 v32, v32, v31
	v_sub_u32_e32 v31, v32, v31
	v_cmp_lt_i32_e64 s[8:9], -1, v31
	s_and_b64 s[8:9], s[8:9], vcc
	s_and_b64 s[62:63], s[8:9], s[0:1]
	v_cmp_gt_i32_e64 s[8:9], s27, v31
	s_and_b64 s[8:9], s[8:9], s[62:63]
	s_and_b64 s[8:9], s[8:9], s[6:7]
	;; [unrolled: 1-line block ×3, first 2 shown]
	v_mov_b32_e32 v32, 0
	s_and_saveexec_b64 s[62:63], s[8:9]
	s_cbranch_execz .LBB31_15
; %bb.17:                               ;   in Loop: Header=BB31_16 Depth=5
	v_add_u32_e32 v32, v31, v28
	v_ashrrev_i32_e32 v33, 31, v32
	v_lshlrev_b64 v[32:33], 1, v[32:33]
	v_add_co_u32_e64 v32, s[8:9], v25, v32
	v_addc_co_u32_e64 v33, s[8:9], v26, v33, s[8:9]
	global_load_ushort v32, v[32:33], off
	s_waitcnt vmcnt(0)
	v_lshlrev_b32_e32 v32, 16, v32
	s_branch .LBB31_15
.LBB31_18:
	s_endpgm
	.section	.rodata,"a",@progbits
	.p2align	6, 0x0
	.amdhsa_kernel _ZN2at6native12_GLOBAL__N_143conv_depthwise3d_cuda_backward_input_kernelIN3c108BFloat16EfLin1ELin1ELin1ELin1ELin1ELin1ELin1ELin1ELin1EEEvN5torch10headeronly6detail27GenericPackedTensorAccessorINS7_14TensorAccessorINS3_8ArrayRefIlEEKT_Lm4ENS6_16DefaultPtrTraitsEiEENS_6detail16IndexBoundsCheckILm5EiEESD_Lm5ESE_iEENS8_INS9_ISB_SC_Lm4ESE_iEESI_SC_Lm5ESE_iEESJ_iiiiiiiii
		.amdhsa_group_segment_fixed_size 0
		.amdhsa_private_segment_fixed_size 0
		.amdhsa_kernarg_size 440
		.amdhsa_user_sgpr_count 6
		.amdhsa_user_sgpr_private_segment_buffer 1
		.amdhsa_user_sgpr_dispatch_ptr 0
		.amdhsa_user_sgpr_queue_ptr 0
		.amdhsa_user_sgpr_kernarg_segment_ptr 1
		.amdhsa_user_sgpr_dispatch_id 0
		.amdhsa_user_sgpr_flat_scratch_init 0
		.amdhsa_user_sgpr_kernarg_preload_length 0
		.amdhsa_user_sgpr_kernarg_preload_offset 0
		.amdhsa_user_sgpr_private_segment_size 0
		.amdhsa_uses_dynamic_stack 0
		.amdhsa_system_sgpr_private_segment_wavefront_offset 0
		.amdhsa_system_sgpr_workgroup_id_x 1
		.amdhsa_system_sgpr_workgroup_id_y 0
		.amdhsa_system_sgpr_workgroup_id_z 0
		.amdhsa_system_sgpr_workgroup_info 0
		.amdhsa_system_vgpr_workitem_id 0
		.amdhsa_next_free_vgpr 35
		.amdhsa_next_free_sgpr 83
		.amdhsa_accum_offset 36
		.amdhsa_reserve_vcc 1
		.amdhsa_reserve_flat_scratch 0
		.amdhsa_float_round_mode_32 0
		.amdhsa_float_round_mode_16_64 0
		.amdhsa_float_denorm_mode_32 3
		.amdhsa_float_denorm_mode_16_64 3
		.amdhsa_dx10_clamp 1
		.amdhsa_ieee_mode 1
		.amdhsa_fp16_overflow 0
		.amdhsa_tg_split 0
		.amdhsa_exception_fp_ieee_invalid_op 0
		.amdhsa_exception_fp_denorm_src 0
		.amdhsa_exception_fp_ieee_div_zero 0
		.amdhsa_exception_fp_ieee_overflow 0
		.amdhsa_exception_fp_ieee_underflow 0
		.amdhsa_exception_fp_ieee_inexact 0
		.amdhsa_exception_int_div_zero 0
	.end_amdhsa_kernel
	.section	.text._ZN2at6native12_GLOBAL__N_143conv_depthwise3d_cuda_backward_input_kernelIN3c108BFloat16EfLin1ELin1ELin1ELin1ELin1ELin1ELin1ELin1ELin1EEEvN5torch10headeronly6detail27GenericPackedTensorAccessorINS7_14TensorAccessorINS3_8ArrayRefIlEEKT_Lm4ENS6_16DefaultPtrTraitsEiEENS_6detail16IndexBoundsCheckILm5EiEESD_Lm5ESE_iEENS8_INS9_ISB_SC_Lm4ESE_iEESI_SC_Lm5ESE_iEESJ_iiiiiiiii,"axG",@progbits,_ZN2at6native12_GLOBAL__N_143conv_depthwise3d_cuda_backward_input_kernelIN3c108BFloat16EfLin1ELin1ELin1ELin1ELin1ELin1ELin1ELin1ELin1EEEvN5torch10headeronly6detail27GenericPackedTensorAccessorINS7_14TensorAccessorINS3_8ArrayRefIlEEKT_Lm4ENS6_16DefaultPtrTraitsEiEENS_6detail16IndexBoundsCheckILm5EiEESD_Lm5ESE_iEENS8_INS9_ISB_SC_Lm4ESE_iEESI_SC_Lm5ESE_iEESJ_iiiiiiiii,comdat
.Lfunc_end31:
	.size	_ZN2at6native12_GLOBAL__N_143conv_depthwise3d_cuda_backward_input_kernelIN3c108BFloat16EfLin1ELin1ELin1ELin1ELin1ELin1ELin1ELin1ELin1EEEvN5torch10headeronly6detail27GenericPackedTensorAccessorINS7_14TensorAccessorINS3_8ArrayRefIlEEKT_Lm4ENS6_16DefaultPtrTraitsEiEENS_6detail16IndexBoundsCheckILm5EiEESD_Lm5ESE_iEENS8_INS9_ISB_SC_Lm4ESE_iEESI_SC_Lm5ESE_iEESJ_iiiiiiiii, .Lfunc_end31-_ZN2at6native12_GLOBAL__N_143conv_depthwise3d_cuda_backward_input_kernelIN3c108BFloat16EfLin1ELin1ELin1ELin1ELin1ELin1ELin1ELin1ELin1EEEvN5torch10headeronly6detail27GenericPackedTensorAccessorINS7_14TensorAccessorINS3_8ArrayRefIlEEKT_Lm4ENS6_16DefaultPtrTraitsEiEENS_6detail16IndexBoundsCheckILm5EiEESD_Lm5ESE_iEENS8_INS9_ISB_SC_Lm4ESE_iEESI_SC_Lm5ESE_iEESJ_iiiiiiiii
                                        ; -- End function
	.section	.AMDGPU.csdata,"",@progbits
; Kernel info:
; codeLenInByte = 2036
; NumSgprs: 87
; NumVgprs: 35
; NumAgprs: 0
; TotalNumVgprs: 35
; ScratchSize: 0
; MemoryBound: 0
; FloatMode: 240
; IeeeMode: 1
; LDSByteSize: 0 bytes/workgroup (compile time only)
; SGPRBlocks: 10
; VGPRBlocks: 4
; NumSGPRsForWavesPerEU: 87
; NumVGPRsForWavesPerEU: 35
; AccumOffset: 36
; Occupancy: 8
; WaveLimiterHint : 0
; COMPUTE_PGM_RSRC2:SCRATCH_EN: 0
; COMPUTE_PGM_RSRC2:USER_SGPR: 6
; COMPUTE_PGM_RSRC2:TRAP_HANDLER: 0
; COMPUTE_PGM_RSRC2:TGID_X_EN: 1
; COMPUTE_PGM_RSRC2:TGID_Y_EN: 0
; COMPUTE_PGM_RSRC2:TGID_Z_EN: 0
; COMPUTE_PGM_RSRC2:TIDIG_COMP_CNT: 0
; COMPUTE_PGM_RSRC3_GFX90A:ACCUM_OFFSET: 8
; COMPUTE_PGM_RSRC3_GFX90A:TG_SPLIT: 0
	.section	.text._ZN2at6native12_GLOBAL__N_144conv_depthwise3d_cuda_backward_weight_kernelIddLi1ELi1EEEvN5torch10headeronly6detail27GenericPackedTensorAccessorINS5_14TensorAccessorIN3c108ArrayRefIlEEKT_Lm4ENS4_16DefaultPtrTraitsEiEENS_6detail16IndexBoundsCheckILm5EiEESC_Lm5ESD_iEESI_NS6_INS7_ISA_SB_Lm4ESD_iEESH_SB_Lm5ESD_iEEiiiiiiiii,"axG",@progbits,_ZN2at6native12_GLOBAL__N_144conv_depthwise3d_cuda_backward_weight_kernelIddLi1ELi1EEEvN5torch10headeronly6detail27GenericPackedTensorAccessorINS5_14TensorAccessorIN3c108ArrayRefIlEEKT_Lm4ENS4_16DefaultPtrTraitsEiEENS_6detail16IndexBoundsCheckILm5EiEESC_Lm5ESD_iEESI_NS6_INS7_ISA_SB_Lm4ESD_iEESH_SB_Lm5ESD_iEEiiiiiiiii,comdat
	.globl	_ZN2at6native12_GLOBAL__N_144conv_depthwise3d_cuda_backward_weight_kernelIddLi1ELi1EEEvN5torch10headeronly6detail27GenericPackedTensorAccessorINS5_14TensorAccessorIN3c108ArrayRefIlEEKT_Lm4ENS4_16DefaultPtrTraitsEiEENS_6detail16IndexBoundsCheckILm5EiEESC_Lm5ESD_iEESI_NS6_INS7_ISA_SB_Lm4ESD_iEESH_SB_Lm5ESD_iEEiiiiiiiii ; -- Begin function _ZN2at6native12_GLOBAL__N_144conv_depthwise3d_cuda_backward_weight_kernelIddLi1ELi1EEEvN5torch10headeronly6detail27GenericPackedTensorAccessorINS5_14TensorAccessorIN3c108ArrayRefIlEEKT_Lm4ENS4_16DefaultPtrTraitsEiEENS_6detail16IndexBoundsCheckILm5EiEESC_Lm5ESD_iEESI_NS6_INS7_ISA_SB_Lm4ESD_iEESH_SB_Lm5ESD_iEEiiiiiiiii
	.p2align	8
	.type	_ZN2at6native12_GLOBAL__N_144conv_depthwise3d_cuda_backward_weight_kernelIddLi1ELi1EEEvN5torch10headeronly6detail27GenericPackedTensorAccessorINS5_14TensorAccessorIN3c108ArrayRefIlEEKT_Lm4ENS4_16DefaultPtrTraitsEiEENS_6detail16IndexBoundsCheckILm5EiEESC_Lm5ESD_iEESI_NS6_INS7_ISA_SB_Lm4ESD_iEESH_SB_Lm5ESD_iEEiiiiiiiii,@function
_ZN2at6native12_GLOBAL__N_144conv_depthwise3d_cuda_backward_weight_kernelIddLi1ELi1EEEvN5torch10headeronly6detail27GenericPackedTensorAccessorINS5_14TensorAccessorIN3c108ArrayRefIlEEKT_Lm4ENS4_16DefaultPtrTraitsEiEENS_6detail16IndexBoundsCheckILm5EiEESC_Lm5ESD_iEESI_NS6_INS7_ISA_SB_Lm4ESD_iEESH_SB_Lm5ESD_iEEiiiiiiiii: ; @_ZN2at6native12_GLOBAL__N_144conv_depthwise3d_cuda_backward_weight_kernelIddLi1ELi1EEEvN5torch10headeronly6detail27GenericPackedTensorAccessorINS5_14TensorAccessorIN3c108ArrayRefIlEEKT_Lm4ENS4_16DefaultPtrTraitsEiEENS_6detail16IndexBoundsCheckILm5EiEESC_Lm5ESD_iEESI_NS6_INS7_ISA_SB_Lm4ESD_iEESH_SB_Lm5ESD_iEEiiiiiiiii
; %bb.0:
	s_load_dwordx4 s[8:11], s[4:5], 0x70
	s_add_u32 s0, s4, 0x60
	s_addc_u32 s1, s5, 0
	s_load_dwordx4 s[16:19], s[4:5], 0x3c
	s_load_dwordx4 s[20:23], s[4:5], 0xc
	s_waitcnt lgkmcnt(0)
	v_cvt_f32_u32_e32 v1, s10
	v_cvt_f32_u32_e32 v2, s9
	s_sub_i32 s2, 0, s10
	v_rcp_iflag_f32_e32 v1, v1
	v_rcp_iflag_f32_e32 v2, v2
	v_mul_f32_e32 v1, 0x4f7ffffe, v1
	v_cvt_u32_f32_e32 v1, v1
	v_mul_f32_e32 v2, 0x4f7ffffe, v2
	v_cvt_u32_f32_e32 v2, v2
	v_readfirstlane_b32 s3, v1
	s_mul_i32 s2, s2, s3
	s_mul_hi_u32 s2, s3, s2
	s_add_i32 s3, s3, s2
	s_mul_hi_u32 s2, s6, s3
	s_mul_i32 s3, s2, s10
	s_sub_i32 s3, s6, s3
	s_add_i32 s12, s2, 1
	s_sub_i32 s13, s3, s10
	s_cmp_ge_u32 s3, s10
	s_cselect_b32 s2, s12, s2
	s_cselect_b32 s3, s13, s3
	s_add_i32 s12, s2, 1
	s_cmp_ge_u32 s3, s10
	v_cvt_f32_u32_e32 v1, s8
	v_readfirstlane_b32 s7, v2
	s_cselect_b32 s2, s12, s2
	s_sub_i32 s3, 0, s9
	s_mul_i32 s3, s3, s7
	s_mul_hi_u32 s3, s7, s3
	s_add_i32 s7, s7, s3
	v_rcp_iflag_f32_e32 v1, v1
	s_mul_hi_u32 s3, s2, s7
	s_mul_i32 s7, s3, s9
	s_sub_i32 s7, s2, s7
	s_add_i32 s12, s3, 1
	s_sub_i32 s13, s7, s9
	v_mul_f32_e32 v1, 0x4f7ffffe, v1
	s_cmp_ge_u32 s7, s9
	v_cvt_u32_f32_e32 v1, v1
	s_cselect_b32 s3, s12, s3
	s_cselect_b32 s7, s13, s7
	s_add_i32 s12, s3, 1
	s_cmp_ge_u32 s7, s9
	s_cselect_b32 s3, s12, s3
	s_sub_i32 s7, 0, s8
	v_readfirstlane_b32 s12, v1
	s_mul_i32 s7, s7, s12
	s_mul_hi_u32 s7, s12, s7
	s_add_i32 s12, s12, s7
	s_mul_hi_u32 s7, s3, s12
	s_mul_i32 s12, s7, s8
	s_sub_i32 s12, s3, s12
	s_add_i32 s13, s7, 1
	s_sub_i32 s14, s12, s8
	s_cmp_ge_u32 s12, s8
	s_cselect_b32 s7, s13, s7
	s_cselect_b32 s12, s14, s12
	s_add_i32 s13, s7, 1
	s_cmp_ge_u32 s12, s8
	s_cselect_b32 s33, s13, s7
	s_abs_i32 s7, s16
	v_cvt_f32_u32_e32 v1, s7
	s_sub_i32 s14, 0, s7
	s_abs_i32 s13, s20
	s_xor_b32 s12, s20, s16
	v_rcp_iflag_f32_e32 v1, v1
	s_ashr_i32 s12, s12, 31
	v_mul_f32_e32 v1, 0x4f7ffffe, v1
	v_cvt_u32_f32_e32 v1, v1
	v_readfirstlane_b32 s15, v1
	s_mul_i32 s14, s14, s15
	s_mul_hi_u32 s14, s15, s14
	s_add_i32 s15, s15, s14
	s_mul_hi_u32 s14, s13, s15
	s_mul_i32 s15, s14, s7
	s_sub_i32 s13, s13, s15
	s_add_i32 s15, s14, 1
	s_sub_i32 s16, s13, s7
	s_cmp_ge_u32 s13, s7
	s_cselect_b32 s14, s15, s14
	s_cselect_b32 s13, s16, s13
	s_add_i32 s15, s14, 1
	s_cmp_ge_u32 s13, s7
	s_cselect_b32 s7, s15, s14
	s_xor_b32 s7, s7, s12
	s_sub_i32 s25, s7, s12
	s_abs_i32 s24, s25
	v_cvt_f32_u32_e32 v1, s24
	s_load_dword s7, s[4:5], 0x68
	v_rcp_iflag_f32_e32 v1, v1
	s_waitcnt lgkmcnt(0)
	s_cmp_ge_i32 s33, s7
	v_mul_f32_e32 v1, 0x4f7ffffe, v1
	v_cvt_u32_f32_e32 v1, v1
	v_readfirstlane_b32 s26, v1
	s_cbranch_scc1 .LBB32_28
; %bb.1:
	s_load_dwordx2 s[34:35], s[0:1], 0x0
	s_load_dwordx4 s[12:15], s[0:1], 0x24
	s_mul_i32 s0, s2, s10
	s_sub_i32 s10, s6, s0
	s_mul_i32 s0, s3, s9
	s_sub_i32 s16, s2, s0
	s_load_dword s0, s[4:5], 0xc4
	s_load_dword s45, s[4:5], 0x38
	s_mul_i32 s1, s33, s8
	v_lshrrev_b32_e32 v1, 6, v0
	s_sub_i32 s20, s3, s1
	s_waitcnt lgkmcnt(0)
	s_and_b32 s44, s0, 0xffff
	s_mul_i32 s45, s45, s21
	v_cmp_gt_i32_e32 vcc, s45, v1
	v_pk_mov_b32 v[2:3], 0, 0
	s_and_saveexec_b64 s[6:7], vcc
	s_cbranch_execz .LBB32_23
; %bb.2:
	s_sub_i32 s3, 0, s24
	s_mul_i32 s3, s3, s26
	s_mul_hi_u32 s3, s26, s3
	s_abs_i32 s2, s33
	s_add_i32 s26, s26, s3
	s_ashr_i32 s0, s33, 31
	s_ashr_i32 s1, s25, 31
	s_mul_hi_u32 s3, s2, s26
	s_xor_b32 s25, s0, s1
	s_mul_i32 s0, s3, s24
	s_sub_i32 s0, s2, s0
	s_lshr_b32 s46, s44, 6
	s_add_i32 s1, s3, 1
	s_sub_i32 s2, s0, s24
	s_cmp_ge_u32 s0, s24
	s_cselect_b32 s1, s1, s3
	s_cselect_b32 s0, s2, s0
	s_add_i32 s2, s1, 1
	s_cmp_ge_u32 s0, s24
	s_cselect_b32 s24, s2, s1
	s_abs_i32 s26, s21
	v_cvt_f32_u32_e32 v2, s26
	s_xor_b32 s24, s24, s25
	s_sub_i32 s42, s24, s25
	s_sub_i32 s24, 0, s26
	v_rcp_iflag_f32_e32 v2, v2
	s_load_dwordx4 s[0:3], s[4:5], 0x9c
	s_load_dwordx2 s[8:9], s[4:5], 0xac
	s_ashr_i32 s28, s21, 31
	v_and_b32_e32 v4, 63, v0
	v_mul_f32_e32 v2, 0x4f7ffffe, v2
	v_cvt_u32_f32_e32 v2, v2
	s_waitcnt lgkmcnt(0)
	s_mul_i32 s3, s20, s3
	v_mov_b32_e32 v13, 0
	v_lshlrev_b32_e32 v16, 3, v4
	v_mul_lo_u32 v3, s24, v2
	v_mul_hi_u32 v3, v2, v3
	v_add_u32_e32 v2, v2, v3
	v_mul_hi_u32 v2, v1, v2
	v_mul_lo_u32 v3, v2, s26
	v_sub_u32_e32 v3, v1, v3
	v_add_u32_e32 v5, 1, v2
	v_cmp_le_u32_e32 vcc, s26, v3
	v_cndmask_b32_e32 v2, v2, v5, vcc
	v_subrev_u32_e32 v5, s26, v3
	v_cndmask_b32_e32 v3, v3, v5, vcc
	v_add_u32_e32 v5, 1, v2
	v_cmp_le_u32_e32 vcc, s26, v3
	s_load_dwordx2 s[36:37], s[4:5], 0x0
	s_load_dwordx4 s[24:27], s[4:5], 0x1c
	v_cndmask_b32_e32 v2, v2, v5, vcc
	v_xor_b32_e32 v2, s28, v2
	v_subrev_u32_e32 v11, s28, v2
	s_load_dwordx2 s[40:41], s[4:5], 0x30
	s_load_dwordx4 s[28:31], s[4:5], 0x4c
	s_waitcnt lgkmcnt(0)
	s_mul_i32 s38, s25, s33
	s_ashr_i32 s39, s38, 31
	s_sub_i32 s27, s3, s0
	s_lshl_b64 s[4:5], s[38:39], 3
	s_add_u32 s25, s36, s4
	s_mul_i32 s4, s29, s42
	s_addc_u32 s31, s37, s5
	s_ashr_i32 s5, s4, 31
	s_lshl_b64 s[4:5], s[4:5], 3
	s_add_u32 s29, s40, s4
	s_addc_u32 s47, s41, s5
	s_abs_i32 s0, s23
	v_cvt_f32_u32_e32 v2, s0
	s_mul_i32 s3, s10, s9
	s_sub_i32 s48, s3, s2
	s_mul_i32 s2, s16, s8
	v_rcp_iflag_f32_e32 v2, v2
	v_mul_lo_u32 v3, v11, s21
	s_sub_i32 s49, s2, s1
	s_sub_i32 s2, 0, s0
	v_mul_f32_e32 v2, 0x4f7ffffe, v2
	v_cvt_u32_f32_e32 v2, v2
	v_sub_u32_e32 v12, v1, v3
	s_ashr_i32 s1, s23, 31
	s_mov_b64 s[8:9], 0
	v_mul_lo_u32 v3, s2, v2
	v_mul_hi_u32 v3, v2, v3
	v_add_u32_e32 v2, v2, v3
	v_mul_hi_u32 v2, v4, v2
	v_mul_lo_u32 v3, v2, s0
	v_sub_u32_e32 v3, v4, v3
	v_add_u32_e32 v5, 1, v2
	v_cmp_le_u32_e32 vcc, s0, v3
	v_cndmask_b32_e32 v2, v2, v5, vcc
	v_subrev_u32_e32 v5, s0, v3
	v_cndmask_b32_e32 v3, v3, v5, vcc
	v_add_u32_e32 v5, 1, v2
	v_cmp_le_u32_e32 vcc, s0, v3
	v_cndmask_b32_e32 v2, v2, v5, vcc
	v_xor_b32_e32 v2, s1, v2
	v_subrev_u32_e32 v14, s1, v2
	v_mul_lo_u32 v2, v14, s23
	v_cmp_gt_i32_e64 s[0:1], s22, v14
	v_sub_u32_e32 v15, v4, v2
	v_pk_mov_b32 v[2:3], 0, 0
	s_branch .LBB32_6
.LBB32_3:                               ;   in Loop: Header=BB32_6 Depth=1
	s_or_b64 exec, exec, s[40:41]
.LBB32_4:                               ;   in Loop: Header=BB32_6 Depth=1
	s_or_b64 exec, exec, s[38:39]
.LBB32_5:                               ;   in Loop: Header=BB32_6 Depth=1
	s_or_b64 exec, exec, s[36:37]
	v_add_u32_e32 v1, s46, v1
	v_cmp_le_i32_e32 vcc, s45, v1
	s_or_b64 s[8:9], vcc, s[8:9]
	v_add_u32_e32 v12, s46, v12
	s_andn2_b64 exec, exec, s[8:9]
	s_cbranch_execz .LBB32_22
.LBB32_6:                               ; =>This Loop Header: Depth=1
                                        ;     Child Loop BB32_8 Depth 2
                                        ;     Child Loop BB32_14 Depth 2
                                        ;       Child Loop BB32_20 Depth 3
	v_cmp_le_i32_e32 vcc, s21, v12
	s_and_saveexec_b64 s[2:3], vcc
	s_cbranch_execz .LBB32_10
; %bb.7:                                ;   in Loop: Header=BB32_6 Depth=1
	s_mov_b64 s[4:5], 0
.LBB32_8:                               ;   Parent Loop BB32_6 Depth=1
                                        ; =>  This Inner Loop Header: Depth=2
	v_subrev_u32_e32 v12, s21, v12
	v_cmp_gt_i32_e32 vcc, s21, v12
	s_or_b64 s[4:5], vcc, s[4:5]
	v_add_u32_e32 v11, 1, v11
	s_andn2_b64 exec, exec, s[4:5]
	s_cbranch_execnz .LBB32_8
; %bb.9:                                ;   in Loop: Header=BB32_6 Depth=1
	s_or_b64 exec, exec, s[4:5]
.LBB32_10:                              ;   in Loop: Header=BB32_6 Depth=1
	s_or_b64 exec, exec, s[2:3]
	v_mul_lo_u32 v4, v12, s15
	v_add_u32_e32 v4, s27, v4
	v_cmp_lt_i32_e32 vcc, -1, v4
	v_cmp_gt_i32_e64 s[2:3], s17, v4
	s_and_b64 s[2:3], vcc, s[2:3]
	s_and_saveexec_b64 s[36:37], s[2:3]
	s_cbranch_execz .LBB32_5
; %bb.11:                               ;   in Loop: Header=BB32_6 Depth=1
	s_and_saveexec_b64 s[38:39], s[0:1]
	s_cbranch_execz .LBB32_4
; %bb.12:                               ;   in Loop: Header=BB32_6 Depth=1
	v_mul_lo_u32 v6, s28, v11
	v_ashrrev_i32_e32 v7, 31, v6
	v_lshlrev_b64 v[6:7], 3, v[6:7]
	v_mov_b32_e32 v5, s47
	v_add_co_u32_e32 v6, vcc, s29, v6
	v_mul_lo_u32 v4, s30, v4
	v_addc_co_u32_e32 v7, vcc, v5, v7, vcc
	v_ashrrev_i32_e32 v5, 31, v4
	v_lshlrev_b64 v[4:5], 3, v[4:5]
	v_add_co_u32_e32 v17, vcc, v6, v4
	v_mul_lo_u32 v4, s24, v11
	v_addc_co_u32_e32 v18, vcc, v7, v5, vcc
	v_ashrrev_i32_e32 v5, 31, v4
	v_lshlrev_b64 v[4:5], 3, v[4:5]
	v_mov_b32_e32 v6, s31
	v_add_co_u32_e32 v7, vcc, s25, v4
	v_mul_lo_u32 v4, s26, v12
	v_addc_co_u32_e32 v6, vcc, v6, v5, vcc
	v_ashrrev_i32_e32 v5, 31, v4
	v_lshlrev_b64 v[4:5], 3, v[4:5]
	v_add_co_u32_e32 v4, vcc, v7, v4
	v_addc_co_u32_e32 v5, vcc, v6, v5, vcc
	v_add_co_u32_e32 v4, vcc, v4, v16
	v_addc_co_u32_e32 v5, vcc, 0, v5, vcc
	s_mov_b64 s[40:41], 0
	v_mov_b32_e32 v19, v15
	v_mov_b32_e32 v20, v14
	s_branch .LBB32_14
.LBB32_13:                              ;   in Loop: Header=BB32_14 Depth=2
	s_or_b64 exec, exec, s[2:3]
	v_add_co_u32_e32 v4, vcc, 0x200, v4
	v_addc_co_u32_e32 v5, vcc, 0, v5, vcc
	v_cmp_le_i32_e32 vcc, s22, v20
	s_or_b64 s[40:41], vcc, s[40:41]
	s_waitcnt vmcnt(0)
	v_fmac_f64_e32 v[2:3], v[6:7], v[8:9]
	s_andn2_b64 exec, exec, s[40:41]
	s_cbranch_execz .LBB32_3
.LBB32_14:                              ;   Parent Loop BB32_6 Depth=1
                                        ; =>  This Loop Header: Depth=2
                                        ;       Child Loop BB32_20 Depth 3
	global_load_dwordx2 v[6:7], v[4:5], off
	v_add_u32_e32 v10, s48, v19
	v_cmp_lt_i32_e32 vcc, -1, v10
	v_pk_mov_b32 v[8:9], 0, 0
	s_and_saveexec_b64 s[42:43], vcc
	s_cbranch_execz .LBB32_18
; %bb.15:                               ;   in Loop: Header=BB32_14 Depth=2
	v_add_u32_e32 v21, s49, v20
	v_cmp_gt_i32_e32 vcc, s19, v10
	v_cmp_gt_i32_e64 s[4:5], s18, v21
	v_cmp_lt_i32_e64 s[2:3], -1, v21
	s_and_b64 s[4:5], vcc, s[4:5]
	s_and_b64 s[4:5], s[4:5], s[2:3]
	v_pk_mov_b32 v[8:9], 0, 0
	s_and_saveexec_b64 s[2:3], s[4:5]
	s_cbranch_execz .LBB32_17
; %bb.16:                               ;   in Loop: Header=BB32_14 Depth=2
	v_mad_u64_u32 v[8:9], s[4:5], v21, s19, v[10:11]
	v_mov_b32_e32 v9, v13
	v_lshlrev_b64 v[8:9], 3, v[8:9]
	v_add_co_u32_e32 v8, vcc, v17, v8
	v_addc_co_u32_e32 v9, vcc, v18, v9, vcc
	global_load_dwordx2 v[8:9], v[8:9], off
.LBB32_17:                              ;   in Loop: Header=BB32_14 Depth=2
	s_or_b64 exec, exec, s[2:3]
.LBB32_18:                              ;   in Loop: Header=BB32_14 Depth=2
	s_or_b64 exec, exec, s[42:43]
	v_add_u32_e32 v19, 64, v19
	v_cmp_le_i32_e32 vcc, s23, v19
	s_and_saveexec_b64 s[2:3], vcc
	s_cbranch_execz .LBB32_13
; %bb.19:                               ;   in Loop: Header=BB32_14 Depth=2
	s_mov_b64 s[4:5], 0
.LBB32_20:                              ;   Parent Loop BB32_6 Depth=1
                                        ;     Parent Loop BB32_14 Depth=2
                                        ; =>    This Inner Loop Header: Depth=3
	v_subrev_u32_e32 v19, s23, v19
	v_cmp_gt_i32_e32 vcc, s23, v19
	s_or_b64 s[4:5], vcc, s[4:5]
	v_add_u32_e32 v20, 1, v20
	s_andn2_b64 exec, exec, s[4:5]
	s_cbranch_execnz .LBB32_20
; %bb.21:                               ;   in Loop: Header=BB32_14 Depth=2
	s_or_b64 exec, exec, s[4:5]
	s_branch .LBB32_13
.LBB32_22:
	s_or_b64 exec, exec, s[8:9]
.LBB32_23:
	s_or_b64 exec, exec, s[6:7]
	s_bcnt1_i32_b32 s0, s44
	v_lshl_add_u32 v1, v0, 3, 0
	s_cmp_lg_u32 s0, 1
	s_mov_b64 s[0:1], -1
	ds_write_b64 v1, v[2:3]
	s_waitcnt lgkmcnt(0)
	s_barrier
	s_cbranch_scc1 .LBB32_32
; %bb.24:
	s_andn2_b64 vcc, exec, s[0:1]
	s_cbranch_vccnz .LBB32_28
.LBB32_25:
	s_cmp_lt_u32 s44, 2
	s_cbranch_scc0 .LBB32_30
.LBB32_26:
	v_cmp_eq_u32_e32 vcc, 0, v0
	s_and_saveexec_b64 s[0:1], vcc
	s_cbranch_execz .LBB32_28
; %bb.27:
	s_mul_i32 s0, s11, s33
	s_ashr_i32 s1, s0, 31
	s_lshl_b64 s[0:1], s[0:1], 3
	s_add_u32 s2, s34, s0
	s_mul_i32 s0, s12, s20
	s_addc_u32 s3, s35, s1
	s_ashr_i32 s1, s0, 31
	s_lshl_b64 s[0:1], s[0:1], 3
	s_add_u32 s2, s2, s0
	s_mul_i32 s0, s13, s16
	s_addc_u32 s3, s3, s1
	s_ashr_i32 s1, s0, 31
	s_lshl_b64 s[0:1], s[0:1], 3
	v_mov_b32_e32 v2, 0
	s_add_u32 s2, s2, s0
	s_mul_i32 s0, s14, s10
	ds_read_b64 v[0:1], v2
	s_addc_u32 s3, s3, s1
	s_ashr_i32 s1, s0, 31
	s_lshl_b64 s[0:1], s[0:1], 3
	s_add_u32 s0, s2, s0
	s_addc_u32 s1, s3, s1
	s_waitcnt lgkmcnt(0)
	global_store_dwordx2 v2, v[0:1], s[0:1]
.LBB32_28:
	s_endpgm
.LBB32_29:                              ;   in Loop: Header=BB32_30 Depth=1
	s_or_b64 exec, exec, s[0:1]
	s_cmp_lt_u32 s44, 4
	s_mov_b32 s44, s2
	s_waitcnt lgkmcnt(0)
	s_barrier
	s_cbranch_scc1 .LBB32_26
.LBB32_30:                              ; =>This Inner Loop Header: Depth=1
	s_lshr_b32 s2, s44, 1
	v_cmp_gt_u32_e32 vcc, s2, v0
	s_and_saveexec_b64 s[0:1], vcc
	s_cbranch_execz .LBB32_29
; %bb.31:                               ;   in Loop: Header=BB32_30 Depth=1
	v_lshl_add_u32 v2, s2, 3, v1
	ds_read_b64 v[2:3], v2
	ds_read_b64 v[4:5], v1
	s_waitcnt lgkmcnt(0)
	v_add_f64 v[2:3], v[2:3], v[4:5]
	ds_write_b64 v1, v[2:3]
	s_branch .LBB32_29
.LBB32_32:
	s_trap 2
	; divergent unreachable
	s_cbranch_execz .LBB32_25
	s_branch .LBB32_28
	.section	.rodata,"a",@progbits
	.p2align	6, 0x0
	.amdhsa_kernel _ZN2at6native12_GLOBAL__N_144conv_depthwise3d_cuda_backward_weight_kernelIddLi1ELi1EEEvN5torch10headeronly6detail27GenericPackedTensorAccessorINS5_14TensorAccessorIN3c108ArrayRefIlEEKT_Lm4ENS4_16DefaultPtrTraitsEiEENS_6detail16IndexBoundsCheckILm5EiEESC_Lm5ESD_iEESI_NS6_INS7_ISA_SB_Lm4ESD_iEESH_SB_Lm5ESD_iEEiiiiiiiii
		.amdhsa_group_segment_fixed_size 0
		.amdhsa_private_segment_fixed_size 0
		.amdhsa_kernarg_size 440
		.amdhsa_user_sgpr_count 6
		.amdhsa_user_sgpr_private_segment_buffer 1
		.amdhsa_user_sgpr_dispatch_ptr 0
		.amdhsa_user_sgpr_queue_ptr 0
		.amdhsa_user_sgpr_kernarg_segment_ptr 1
		.amdhsa_user_sgpr_dispatch_id 0
		.amdhsa_user_sgpr_flat_scratch_init 0
		.amdhsa_user_sgpr_kernarg_preload_length 0
		.amdhsa_user_sgpr_kernarg_preload_offset 0
		.amdhsa_user_sgpr_private_segment_size 0
		.amdhsa_uses_dynamic_stack 0
		.amdhsa_system_sgpr_private_segment_wavefront_offset 0
		.amdhsa_system_sgpr_workgroup_id_x 1
		.amdhsa_system_sgpr_workgroup_id_y 0
		.amdhsa_system_sgpr_workgroup_id_z 0
		.amdhsa_system_sgpr_workgroup_info 0
		.amdhsa_system_vgpr_workitem_id 0
		.amdhsa_next_free_vgpr 22
		.amdhsa_next_free_sgpr 50
		.amdhsa_accum_offset 24
		.amdhsa_reserve_vcc 1
		.amdhsa_reserve_flat_scratch 0
		.amdhsa_float_round_mode_32 0
		.amdhsa_float_round_mode_16_64 0
		.amdhsa_float_denorm_mode_32 3
		.amdhsa_float_denorm_mode_16_64 3
		.amdhsa_dx10_clamp 1
		.amdhsa_ieee_mode 1
		.amdhsa_fp16_overflow 0
		.amdhsa_tg_split 0
		.amdhsa_exception_fp_ieee_invalid_op 0
		.amdhsa_exception_fp_denorm_src 0
		.amdhsa_exception_fp_ieee_div_zero 0
		.amdhsa_exception_fp_ieee_overflow 0
		.amdhsa_exception_fp_ieee_underflow 0
		.amdhsa_exception_fp_ieee_inexact 0
		.amdhsa_exception_int_div_zero 0
	.end_amdhsa_kernel
	.section	.text._ZN2at6native12_GLOBAL__N_144conv_depthwise3d_cuda_backward_weight_kernelIddLi1ELi1EEEvN5torch10headeronly6detail27GenericPackedTensorAccessorINS5_14TensorAccessorIN3c108ArrayRefIlEEKT_Lm4ENS4_16DefaultPtrTraitsEiEENS_6detail16IndexBoundsCheckILm5EiEESC_Lm5ESD_iEESI_NS6_INS7_ISA_SB_Lm4ESD_iEESH_SB_Lm5ESD_iEEiiiiiiiii,"axG",@progbits,_ZN2at6native12_GLOBAL__N_144conv_depthwise3d_cuda_backward_weight_kernelIddLi1ELi1EEEvN5torch10headeronly6detail27GenericPackedTensorAccessorINS5_14TensorAccessorIN3c108ArrayRefIlEEKT_Lm4ENS4_16DefaultPtrTraitsEiEENS_6detail16IndexBoundsCheckILm5EiEESC_Lm5ESD_iEESI_NS6_INS7_ISA_SB_Lm4ESD_iEESH_SB_Lm5ESD_iEEiiiiiiiii,comdat
.Lfunc_end32:
	.size	_ZN2at6native12_GLOBAL__N_144conv_depthwise3d_cuda_backward_weight_kernelIddLi1ELi1EEEvN5torch10headeronly6detail27GenericPackedTensorAccessorINS5_14TensorAccessorIN3c108ArrayRefIlEEKT_Lm4ENS4_16DefaultPtrTraitsEiEENS_6detail16IndexBoundsCheckILm5EiEESC_Lm5ESD_iEESI_NS6_INS7_ISA_SB_Lm4ESD_iEESH_SB_Lm5ESD_iEEiiiiiiiii, .Lfunc_end32-_ZN2at6native12_GLOBAL__N_144conv_depthwise3d_cuda_backward_weight_kernelIddLi1ELi1EEEvN5torch10headeronly6detail27GenericPackedTensorAccessorINS5_14TensorAccessorIN3c108ArrayRefIlEEKT_Lm4ENS4_16DefaultPtrTraitsEiEENS_6detail16IndexBoundsCheckILm5EiEESC_Lm5ESD_iEESI_NS6_INS7_ISA_SB_Lm4ESD_iEESH_SB_Lm5ESD_iEEiiiiiiiii
                                        ; -- End function
	.section	.AMDGPU.csdata,"",@progbits
; Kernel info:
; codeLenInByte = 1808
; NumSgprs: 54
; NumVgprs: 22
; NumAgprs: 0
; TotalNumVgprs: 22
; ScratchSize: 0
; MemoryBound: 0
; FloatMode: 240
; IeeeMode: 1
; LDSByteSize: 0 bytes/workgroup (compile time only)
; SGPRBlocks: 6
; VGPRBlocks: 2
; NumSGPRsForWavesPerEU: 54
; NumVGPRsForWavesPerEU: 22
; AccumOffset: 24
; Occupancy: 8
; WaveLimiterHint : 1
; COMPUTE_PGM_RSRC2:SCRATCH_EN: 0
; COMPUTE_PGM_RSRC2:USER_SGPR: 6
; COMPUTE_PGM_RSRC2:TRAP_HANDLER: 0
; COMPUTE_PGM_RSRC2:TGID_X_EN: 1
; COMPUTE_PGM_RSRC2:TGID_Y_EN: 0
; COMPUTE_PGM_RSRC2:TGID_Z_EN: 0
; COMPUTE_PGM_RSRC2:TIDIG_COMP_CNT: 0
; COMPUTE_PGM_RSRC3_GFX90A:ACCUM_OFFSET: 5
; COMPUTE_PGM_RSRC3_GFX90A:TG_SPLIT: 0
	.section	.text._ZN2at6native12_GLOBAL__N_144conv_depthwise3d_cuda_backward_weight_kernelIddLi2ELi2EEEvN5torch10headeronly6detail27GenericPackedTensorAccessorINS5_14TensorAccessorIN3c108ArrayRefIlEEKT_Lm4ENS4_16DefaultPtrTraitsEiEENS_6detail16IndexBoundsCheckILm5EiEESC_Lm5ESD_iEESI_NS6_INS7_ISA_SB_Lm4ESD_iEESH_SB_Lm5ESD_iEEiiiiiiiii,"axG",@progbits,_ZN2at6native12_GLOBAL__N_144conv_depthwise3d_cuda_backward_weight_kernelIddLi2ELi2EEEvN5torch10headeronly6detail27GenericPackedTensorAccessorINS5_14TensorAccessorIN3c108ArrayRefIlEEKT_Lm4ENS4_16DefaultPtrTraitsEiEENS_6detail16IndexBoundsCheckILm5EiEESC_Lm5ESD_iEESI_NS6_INS7_ISA_SB_Lm4ESD_iEESH_SB_Lm5ESD_iEEiiiiiiiii,comdat
	.globl	_ZN2at6native12_GLOBAL__N_144conv_depthwise3d_cuda_backward_weight_kernelIddLi2ELi2EEEvN5torch10headeronly6detail27GenericPackedTensorAccessorINS5_14TensorAccessorIN3c108ArrayRefIlEEKT_Lm4ENS4_16DefaultPtrTraitsEiEENS_6detail16IndexBoundsCheckILm5EiEESC_Lm5ESD_iEESI_NS6_INS7_ISA_SB_Lm4ESD_iEESH_SB_Lm5ESD_iEEiiiiiiiii ; -- Begin function _ZN2at6native12_GLOBAL__N_144conv_depthwise3d_cuda_backward_weight_kernelIddLi2ELi2EEEvN5torch10headeronly6detail27GenericPackedTensorAccessorINS5_14TensorAccessorIN3c108ArrayRefIlEEKT_Lm4ENS4_16DefaultPtrTraitsEiEENS_6detail16IndexBoundsCheckILm5EiEESC_Lm5ESD_iEESI_NS6_INS7_ISA_SB_Lm4ESD_iEESH_SB_Lm5ESD_iEEiiiiiiiii
	.p2align	8
	.type	_ZN2at6native12_GLOBAL__N_144conv_depthwise3d_cuda_backward_weight_kernelIddLi2ELi2EEEvN5torch10headeronly6detail27GenericPackedTensorAccessorINS5_14TensorAccessorIN3c108ArrayRefIlEEKT_Lm4ENS4_16DefaultPtrTraitsEiEENS_6detail16IndexBoundsCheckILm5EiEESC_Lm5ESD_iEESI_NS6_INS7_ISA_SB_Lm4ESD_iEESH_SB_Lm5ESD_iEEiiiiiiiii,@function
_ZN2at6native12_GLOBAL__N_144conv_depthwise3d_cuda_backward_weight_kernelIddLi2ELi2EEEvN5torch10headeronly6detail27GenericPackedTensorAccessorINS5_14TensorAccessorIN3c108ArrayRefIlEEKT_Lm4ENS4_16DefaultPtrTraitsEiEENS_6detail16IndexBoundsCheckILm5EiEESC_Lm5ESD_iEESI_NS6_INS7_ISA_SB_Lm4ESD_iEESH_SB_Lm5ESD_iEEiiiiiiiii: ; @_ZN2at6native12_GLOBAL__N_144conv_depthwise3d_cuda_backward_weight_kernelIddLi2ELi2EEEvN5torch10headeronly6detail27GenericPackedTensorAccessorINS5_14TensorAccessorIN3c108ArrayRefIlEEKT_Lm4ENS4_16DefaultPtrTraitsEiEENS_6detail16IndexBoundsCheckILm5EiEESC_Lm5ESD_iEESI_NS6_INS7_ISA_SB_Lm4ESD_iEESH_SB_Lm5ESD_iEEiiiiiiiii
; %bb.0:
	s_load_dwordx4 s[8:11], s[4:5], 0x70
	s_add_u32 s0, s4, 0x60
	s_addc_u32 s1, s5, 0
	s_load_dwordx4 s[16:19], s[4:5], 0x3c
	s_load_dwordx4 s[20:23], s[4:5], 0xc
	s_waitcnt lgkmcnt(0)
	v_cvt_f32_u32_e32 v1, s10
	v_cvt_f32_u32_e32 v2, s9
	s_sub_i32 s2, 0, s10
	v_rcp_iflag_f32_e32 v1, v1
	v_rcp_iflag_f32_e32 v2, v2
	v_mul_f32_e32 v1, 0x4f7ffffe, v1
	v_cvt_u32_f32_e32 v1, v1
	v_mul_f32_e32 v2, 0x4f7ffffe, v2
	v_cvt_u32_f32_e32 v2, v2
	v_readfirstlane_b32 s3, v1
	s_mul_i32 s2, s2, s3
	s_mul_hi_u32 s2, s3, s2
	s_add_i32 s3, s3, s2
	s_mul_hi_u32 s2, s6, s3
	s_mul_i32 s3, s2, s10
	s_sub_i32 s3, s6, s3
	s_add_i32 s12, s2, 1
	s_sub_i32 s13, s3, s10
	s_cmp_ge_u32 s3, s10
	s_cselect_b32 s2, s12, s2
	s_cselect_b32 s3, s13, s3
	s_add_i32 s12, s2, 1
	s_cmp_ge_u32 s3, s10
	v_cvt_f32_u32_e32 v1, s8
	v_readfirstlane_b32 s7, v2
	s_cselect_b32 s2, s12, s2
	s_sub_i32 s3, 0, s9
	s_mul_i32 s3, s3, s7
	s_mul_hi_u32 s3, s7, s3
	s_add_i32 s7, s7, s3
	v_rcp_iflag_f32_e32 v1, v1
	s_mul_hi_u32 s3, s2, s7
	s_mul_i32 s7, s3, s9
	s_sub_i32 s7, s2, s7
	s_add_i32 s12, s3, 1
	s_sub_i32 s13, s7, s9
	v_mul_f32_e32 v1, 0x4f7ffffe, v1
	s_cmp_ge_u32 s7, s9
	v_cvt_u32_f32_e32 v1, v1
	s_cselect_b32 s3, s12, s3
	s_cselect_b32 s7, s13, s7
	s_add_i32 s12, s3, 1
	s_cmp_ge_u32 s7, s9
	s_cselect_b32 s3, s12, s3
	s_sub_i32 s7, 0, s8
	v_readfirstlane_b32 s12, v1
	s_mul_i32 s7, s7, s12
	s_mul_hi_u32 s7, s12, s7
	s_add_i32 s12, s12, s7
	s_mul_hi_u32 s7, s3, s12
	s_mul_i32 s12, s7, s8
	s_sub_i32 s12, s3, s12
	s_add_i32 s13, s7, 1
	s_sub_i32 s14, s12, s8
	s_cmp_ge_u32 s12, s8
	s_cselect_b32 s7, s13, s7
	s_cselect_b32 s12, s14, s12
	s_add_i32 s13, s7, 1
	s_cmp_ge_u32 s12, s8
	s_cselect_b32 s33, s13, s7
	s_abs_i32 s7, s16
	v_cvt_f32_u32_e32 v1, s7
	s_sub_i32 s14, 0, s7
	s_abs_i32 s13, s20
	s_xor_b32 s12, s20, s16
	v_rcp_iflag_f32_e32 v1, v1
	s_ashr_i32 s12, s12, 31
	v_mul_f32_e32 v1, 0x4f7ffffe, v1
	v_cvt_u32_f32_e32 v1, v1
	v_readfirstlane_b32 s15, v1
	s_mul_i32 s14, s14, s15
	s_mul_hi_u32 s14, s15, s14
	s_add_i32 s15, s15, s14
	s_mul_hi_u32 s14, s13, s15
	s_mul_i32 s15, s14, s7
	s_sub_i32 s13, s13, s15
	s_add_i32 s15, s14, 1
	s_sub_i32 s16, s13, s7
	s_cmp_ge_u32 s13, s7
	s_cselect_b32 s14, s15, s14
	s_cselect_b32 s13, s16, s13
	s_add_i32 s15, s14, 1
	s_cmp_ge_u32 s13, s7
	s_cselect_b32 s7, s15, s14
	s_xor_b32 s7, s7, s12
	s_sub_i32 s25, s7, s12
	s_abs_i32 s24, s25
	v_cvt_f32_u32_e32 v1, s24
	s_load_dword s7, s[4:5], 0x68
	v_rcp_iflag_f32_e32 v1, v1
	s_waitcnt lgkmcnt(0)
	s_cmp_ge_i32 s33, s7
	v_mul_f32_e32 v1, 0x4f7ffffe, v1
	v_cvt_u32_f32_e32 v1, v1
	v_readfirstlane_b32 s26, v1
	s_cbranch_scc1 .LBB33_28
; %bb.1:
	s_load_dwordx2 s[34:35], s[0:1], 0x0
	s_load_dwordx4 s[12:15], s[0:1], 0x24
	s_mul_i32 s0, s2, s10
	s_sub_i32 s10, s6, s0
	s_mul_i32 s0, s3, s9
	s_sub_i32 s16, s2, s0
	s_load_dword s0, s[4:5], 0xc4
	s_load_dword s45, s[4:5], 0x38
	s_mul_i32 s1, s33, s8
	v_lshrrev_b32_e32 v1, 6, v0
	s_sub_i32 s20, s3, s1
	s_waitcnt lgkmcnt(0)
	s_and_b32 s44, s0, 0xffff
	s_mul_i32 s45, s45, s21
	v_cmp_gt_i32_e32 vcc, s45, v1
	v_pk_mov_b32 v[2:3], 0, 0
	s_and_saveexec_b64 s[6:7], vcc
	s_cbranch_execz .LBB33_23
; %bb.2:
	s_sub_i32 s3, 0, s24
	s_mul_i32 s3, s3, s26
	s_mul_hi_u32 s3, s26, s3
	s_abs_i32 s2, s33
	s_add_i32 s26, s26, s3
	s_ashr_i32 s0, s33, 31
	s_ashr_i32 s1, s25, 31
	s_mul_hi_u32 s3, s2, s26
	s_xor_b32 s25, s0, s1
	s_mul_i32 s0, s3, s24
	s_sub_i32 s0, s2, s0
	s_lshr_b32 s46, s44, 6
	s_add_i32 s1, s3, 1
	s_sub_i32 s2, s0, s24
	s_cmp_ge_u32 s0, s24
	s_cselect_b32 s1, s1, s3
	s_cselect_b32 s0, s2, s0
	s_add_i32 s2, s1, 1
	s_cmp_ge_u32 s0, s24
	s_cselect_b32 s24, s2, s1
	s_abs_i32 s26, s21
	v_cvt_f32_u32_e32 v2, s26
	s_xor_b32 s24, s24, s25
	s_sub_i32 s42, s24, s25
	s_sub_i32 s24, 0, s26
	v_rcp_iflag_f32_e32 v2, v2
	s_load_dwordx4 s[0:3], s[4:5], 0x9c
	s_load_dwordx2 s[8:9], s[4:5], 0xac
	s_ashr_i32 s28, s21, 31
	v_and_b32_e32 v4, 63, v0
	v_mul_f32_e32 v2, 0x4f7ffffe, v2
	v_cvt_u32_f32_e32 v2, v2
	s_waitcnt lgkmcnt(0)
	s_mul_i32 s3, s20, s3
	v_mov_b32_e32 v13, 0
	v_lshlrev_b32_e32 v16, 3, v4
	v_mul_lo_u32 v3, s24, v2
	v_mul_hi_u32 v3, v2, v3
	v_add_u32_e32 v2, v2, v3
	v_mul_hi_u32 v2, v1, v2
	v_mul_lo_u32 v3, v2, s26
	v_sub_u32_e32 v3, v1, v3
	v_add_u32_e32 v5, 1, v2
	v_cmp_le_u32_e32 vcc, s26, v3
	v_cndmask_b32_e32 v2, v2, v5, vcc
	v_subrev_u32_e32 v5, s26, v3
	v_cndmask_b32_e32 v3, v3, v5, vcc
	v_add_u32_e32 v5, 1, v2
	v_cmp_le_u32_e32 vcc, s26, v3
	s_load_dwordx2 s[36:37], s[4:5], 0x0
	s_load_dwordx4 s[24:27], s[4:5], 0x1c
	v_cndmask_b32_e32 v2, v2, v5, vcc
	v_xor_b32_e32 v2, s28, v2
	v_subrev_u32_e32 v11, s28, v2
	s_load_dwordx2 s[40:41], s[4:5], 0x30
	s_load_dwordx4 s[28:31], s[4:5], 0x4c
	s_waitcnt lgkmcnt(0)
	s_mul_i32 s38, s25, s33
	s_ashr_i32 s39, s38, 31
	s_sub_i32 s27, s3, s0
	s_lshl_b64 s[4:5], s[38:39], 3
	s_add_u32 s25, s36, s4
	s_mul_i32 s4, s29, s42
	s_addc_u32 s31, s37, s5
	s_ashr_i32 s5, s4, 31
	s_lshl_b64 s[4:5], s[4:5], 3
	s_add_u32 s29, s40, s4
	s_addc_u32 s47, s41, s5
	s_abs_i32 s0, s23
	v_cvt_f32_u32_e32 v2, s0
	s_mul_i32 s3, s10, s9
	s_sub_i32 s48, s3, s2
	s_mul_i32 s2, s16, s8
	v_rcp_iflag_f32_e32 v2, v2
	v_mul_lo_u32 v3, v11, s21
	s_sub_i32 s49, s2, s1
	s_sub_i32 s2, 0, s0
	v_mul_f32_e32 v2, 0x4f7ffffe, v2
	v_cvt_u32_f32_e32 v2, v2
	v_sub_u32_e32 v12, v1, v3
	s_ashr_i32 s1, s23, 31
	s_mov_b64 s[8:9], 0
	v_mul_lo_u32 v3, s2, v2
	v_mul_hi_u32 v3, v2, v3
	v_add_u32_e32 v2, v2, v3
	v_mul_hi_u32 v2, v4, v2
	v_mul_lo_u32 v3, v2, s0
	v_sub_u32_e32 v3, v4, v3
	v_add_u32_e32 v5, 1, v2
	v_cmp_le_u32_e32 vcc, s0, v3
	v_cndmask_b32_e32 v2, v2, v5, vcc
	v_subrev_u32_e32 v5, s0, v3
	v_cndmask_b32_e32 v3, v3, v5, vcc
	v_add_u32_e32 v5, 1, v2
	v_cmp_le_u32_e32 vcc, s0, v3
	v_cndmask_b32_e32 v2, v2, v5, vcc
	v_xor_b32_e32 v2, s1, v2
	v_subrev_u32_e32 v14, s1, v2
	v_mul_lo_u32 v2, v14, s23
	v_cmp_gt_i32_e64 s[0:1], s22, v14
	v_sub_u32_e32 v15, v4, v2
	v_pk_mov_b32 v[2:3], 0, 0
	s_branch .LBB33_6
.LBB33_3:                               ;   in Loop: Header=BB33_6 Depth=1
	s_or_b64 exec, exec, s[40:41]
.LBB33_4:                               ;   in Loop: Header=BB33_6 Depth=1
	s_or_b64 exec, exec, s[38:39]
.LBB33_5:                               ;   in Loop: Header=BB33_6 Depth=1
	s_or_b64 exec, exec, s[36:37]
	v_add_u32_e32 v1, s46, v1
	v_cmp_le_i32_e32 vcc, s45, v1
	s_or_b64 s[8:9], vcc, s[8:9]
	v_add_u32_e32 v12, s46, v12
	s_andn2_b64 exec, exec, s[8:9]
	s_cbranch_execz .LBB33_22
.LBB33_6:                               ; =>This Loop Header: Depth=1
                                        ;     Child Loop BB33_8 Depth 2
                                        ;     Child Loop BB33_14 Depth 2
                                        ;       Child Loop BB33_20 Depth 3
	v_cmp_le_i32_e32 vcc, s21, v12
	s_and_saveexec_b64 s[2:3], vcc
	s_cbranch_execz .LBB33_10
; %bb.7:                                ;   in Loop: Header=BB33_6 Depth=1
	s_mov_b64 s[4:5], 0
.LBB33_8:                               ;   Parent Loop BB33_6 Depth=1
                                        ; =>  This Inner Loop Header: Depth=2
	v_subrev_u32_e32 v12, s21, v12
	v_cmp_gt_i32_e32 vcc, s21, v12
	s_or_b64 s[4:5], vcc, s[4:5]
	v_add_u32_e32 v11, 1, v11
	s_andn2_b64 exec, exec, s[4:5]
	s_cbranch_execnz .LBB33_8
; %bb.9:                                ;   in Loop: Header=BB33_6 Depth=1
	s_or_b64 exec, exec, s[4:5]
.LBB33_10:                              ;   in Loop: Header=BB33_6 Depth=1
	s_or_b64 exec, exec, s[2:3]
	v_mul_lo_u32 v4, v12, s15
	v_add_u32_e32 v4, s27, v4
	v_cmp_lt_i32_e32 vcc, -1, v4
	v_cmp_gt_i32_e64 s[2:3], s17, v4
	s_and_b64 s[2:3], vcc, s[2:3]
	s_and_saveexec_b64 s[36:37], s[2:3]
	s_cbranch_execz .LBB33_5
; %bb.11:                               ;   in Loop: Header=BB33_6 Depth=1
	s_and_saveexec_b64 s[38:39], s[0:1]
	s_cbranch_execz .LBB33_4
; %bb.12:                               ;   in Loop: Header=BB33_6 Depth=1
	v_mul_lo_u32 v6, s28, v11
	v_ashrrev_i32_e32 v7, 31, v6
	v_lshlrev_b64 v[6:7], 3, v[6:7]
	v_mov_b32_e32 v5, s47
	v_add_co_u32_e32 v6, vcc, s29, v6
	v_mul_lo_u32 v4, s30, v4
	v_addc_co_u32_e32 v7, vcc, v5, v7, vcc
	v_ashrrev_i32_e32 v5, 31, v4
	v_lshlrev_b64 v[4:5], 3, v[4:5]
	v_add_co_u32_e32 v17, vcc, v6, v4
	v_mul_lo_u32 v4, s24, v11
	v_addc_co_u32_e32 v18, vcc, v7, v5, vcc
	v_ashrrev_i32_e32 v5, 31, v4
	v_lshlrev_b64 v[4:5], 3, v[4:5]
	v_mov_b32_e32 v6, s31
	v_add_co_u32_e32 v7, vcc, s25, v4
	v_mul_lo_u32 v4, s26, v12
	v_addc_co_u32_e32 v6, vcc, v6, v5, vcc
	v_ashrrev_i32_e32 v5, 31, v4
	v_lshlrev_b64 v[4:5], 3, v[4:5]
	v_add_co_u32_e32 v4, vcc, v7, v4
	v_addc_co_u32_e32 v5, vcc, v6, v5, vcc
	v_add_co_u32_e32 v4, vcc, v4, v16
	v_addc_co_u32_e32 v5, vcc, 0, v5, vcc
	s_mov_b64 s[40:41], 0
	v_mov_b32_e32 v19, v15
	v_mov_b32_e32 v20, v14
	s_branch .LBB33_14
.LBB33_13:                              ;   in Loop: Header=BB33_14 Depth=2
	s_or_b64 exec, exec, s[2:3]
	v_add_co_u32_e32 v4, vcc, 0x200, v4
	v_addc_co_u32_e32 v5, vcc, 0, v5, vcc
	v_cmp_le_i32_e32 vcc, s22, v20
	s_or_b64 s[40:41], vcc, s[40:41]
	s_waitcnt vmcnt(0)
	v_fmac_f64_e32 v[2:3], v[6:7], v[8:9]
	s_andn2_b64 exec, exec, s[40:41]
	s_cbranch_execz .LBB33_3
.LBB33_14:                              ;   Parent Loop BB33_6 Depth=1
                                        ; =>  This Loop Header: Depth=2
                                        ;       Child Loop BB33_20 Depth 3
	global_load_dwordx2 v[6:7], v[4:5], off
	v_lshl_add_u32 v10, v19, 1, s48
	v_cmp_lt_i32_e32 vcc, -1, v10
	v_pk_mov_b32 v[8:9], 0, 0
	s_and_saveexec_b64 s[42:43], vcc
	s_cbranch_execz .LBB33_18
; %bb.15:                               ;   in Loop: Header=BB33_14 Depth=2
	v_lshl_add_u32 v21, v20, 1, s49
	v_cmp_gt_i32_e32 vcc, s19, v10
	v_cmp_gt_i32_e64 s[4:5], s18, v21
	v_cmp_lt_i32_e64 s[2:3], -1, v21
	s_and_b64 s[4:5], vcc, s[4:5]
	s_and_b64 s[4:5], s[4:5], s[2:3]
	v_pk_mov_b32 v[8:9], 0, 0
	s_and_saveexec_b64 s[2:3], s[4:5]
	s_cbranch_execz .LBB33_17
; %bb.16:                               ;   in Loop: Header=BB33_14 Depth=2
	v_mad_u64_u32 v[8:9], s[4:5], v21, s19, v[10:11]
	v_mov_b32_e32 v9, v13
	v_lshlrev_b64 v[8:9], 3, v[8:9]
	v_add_co_u32_e32 v8, vcc, v17, v8
	v_addc_co_u32_e32 v9, vcc, v18, v9, vcc
	global_load_dwordx2 v[8:9], v[8:9], off
.LBB33_17:                              ;   in Loop: Header=BB33_14 Depth=2
	s_or_b64 exec, exec, s[2:3]
.LBB33_18:                              ;   in Loop: Header=BB33_14 Depth=2
	s_or_b64 exec, exec, s[42:43]
	v_add_u32_e32 v19, 64, v19
	v_cmp_le_i32_e32 vcc, s23, v19
	s_and_saveexec_b64 s[2:3], vcc
	s_cbranch_execz .LBB33_13
; %bb.19:                               ;   in Loop: Header=BB33_14 Depth=2
	s_mov_b64 s[4:5], 0
.LBB33_20:                              ;   Parent Loop BB33_6 Depth=1
                                        ;     Parent Loop BB33_14 Depth=2
                                        ; =>    This Inner Loop Header: Depth=3
	v_subrev_u32_e32 v19, s23, v19
	v_cmp_gt_i32_e32 vcc, s23, v19
	s_or_b64 s[4:5], vcc, s[4:5]
	v_add_u32_e32 v20, 1, v20
	s_andn2_b64 exec, exec, s[4:5]
	s_cbranch_execnz .LBB33_20
; %bb.21:                               ;   in Loop: Header=BB33_14 Depth=2
	s_or_b64 exec, exec, s[4:5]
	s_branch .LBB33_13
.LBB33_22:
	s_or_b64 exec, exec, s[8:9]
.LBB33_23:
	s_or_b64 exec, exec, s[6:7]
	s_bcnt1_i32_b32 s0, s44
	v_lshl_add_u32 v1, v0, 3, 0
	s_cmp_lg_u32 s0, 1
	s_mov_b64 s[0:1], -1
	ds_write_b64 v1, v[2:3]
	s_waitcnt lgkmcnt(0)
	s_barrier
	s_cbranch_scc1 .LBB33_32
; %bb.24:
	s_andn2_b64 vcc, exec, s[0:1]
	s_cbranch_vccnz .LBB33_28
.LBB33_25:
	s_cmp_lt_u32 s44, 2
	s_cbranch_scc0 .LBB33_30
.LBB33_26:
	v_cmp_eq_u32_e32 vcc, 0, v0
	s_and_saveexec_b64 s[0:1], vcc
	s_cbranch_execz .LBB33_28
; %bb.27:
	s_mul_i32 s0, s11, s33
	s_ashr_i32 s1, s0, 31
	s_lshl_b64 s[0:1], s[0:1], 3
	s_add_u32 s2, s34, s0
	s_mul_i32 s0, s12, s20
	s_addc_u32 s3, s35, s1
	s_ashr_i32 s1, s0, 31
	s_lshl_b64 s[0:1], s[0:1], 3
	s_add_u32 s2, s2, s0
	s_mul_i32 s0, s13, s16
	s_addc_u32 s3, s3, s1
	s_ashr_i32 s1, s0, 31
	s_lshl_b64 s[0:1], s[0:1], 3
	v_mov_b32_e32 v2, 0
	s_add_u32 s2, s2, s0
	s_mul_i32 s0, s14, s10
	ds_read_b64 v[0:1], v2
	s_addc_u32 s3, s3, s1
	s_ashr_i32 s1, s0, 31
	s_lshl_b64 s[0:1], s[0:1], 3
	s_add_u32 s0, s2, s0
	s_addc_u32 s1, s3, s1
	s_waitcnt lgkmcnt(0)
	global_store_dwordx2 v2, v[0:1], s[0:1]
.LBB33_28:
	s_endpgm
.LBB33_29:                              ;   in Loop: Header=BB33_30 Depth=1
	s_or_b64 exec, exec, s[0:1]
	s_cmp_lt_u32 s44, 4
	s_mov_b32 s44, s2
	s_waitcnt lgkmcnt(0)
	s_barrier
	s_cbranch_scc1 .LBB33_26
.LBB33_30:                              ; =>This Inner Loop Header: Depth=1
	s_lshr_b32 s2, s44, 1
	v_cmp_gt_u32_e32 vcc, s2, v0
	s_and_saveexec_b64 s[0:1], vcc
	s_cbranch_execz .LBB33_29
; %bb.31:                               ;   in Loop: Header=BB33_30 Depth=1
	v_lshl_add_u32 v2, s2, 3, v1
	ds_read_b64 v[2:3], v2
	ds_read_b64 v[4:5], v1
	s_waitcnt lgkmcnt(0)
	v_add_f64 v[2:3], v[2:3], v[4:5]
	ds_write_b64 v1, v[2:3]
	s_branch .LBB33_29
.LBB33_32:
	s_trap 2
	; divergent unreachable
	s_cbranch_execz .LBB33_25
	s_branch .LBB33_28
	.section	.rodata,"a",@progbits
	.p2align	6, 0x0
	.amdhsa_kernel _ZN2at6native12_GLOBAL__N_144conv_depthwise3d_cuda_backward_weight_kernelIddLi2ELi2EEEvN5torch10headeronly6detail27GenericPackedTensorAccessorINS5_14TensorAccessorIN3c108ArrayRefIlEEKT_Lm4ENS4_16DefaultPtrTraitsEiEENS_6detail16IndexBoundsCheckILm5EiEESC_Lm5ESD_iEESI_NS6_INS7_ISA_SB_Lm4ESD_iEESH_SB_Lm5ESD_iEEiiiiiiiii
		.amdhsa_group_segment_fixed_size 0
		.amdhsa_private_segment_fixed_size 0
		.amdhsa_kernarg_size 440
		.amdhsa_user_sgpr_count 6
		.amdhsa_user_sgpr_private_segment_buffer 1
		.amdhsa_user_sgpr_dispatch_ptr 0
		.amdhsa_user_sgpr_queue_ptr 0
		.amdhsa_user_sgpr_kernarg_segment_ptr 1
		.amdhsa_user_sgpr_dispatch_id 0
		.amdhsa_user_sgpr_flat_scratch_init 0
		.amdhsa_user_sgpr_kernarg_preload_length 0
		.amdhsa_user_sgpr_kernarg_preload_offset 0
		.amdhsa_user_sgpr_private_segment_size 0
		.amdhsa_uses_dynamic_stack 0
		.amdhsa_system_sgpr_private_segment_wavefront_offset 0
		.amdhsa_system_sgpr_workgroup_id_x 1
		.amdhsa_system_sgpr_workgroup_id_y 0
		.amdhsa_system_sgpr_workgroup_id_z 0
		.amdhsa_system_sgpr_workgroup_info 0
		.amdhsa_system_vgpr_workitem_id 0
		.amdhsa_next_free_vgpr 22
		.amdhsa_next_free_sgpr 50
		.amdhsa_accum_offset 24
		.amdhsa_reserve_vcc 1
		.amdhsa_reserve_flat_scratch 0
		.amdhsa_float_round_mode_32 0
		.amdhsa_float_round_mode_16_64 0
		.amdhsa_float_denorm_mode_32 3
		.amdhsa_float_denorm_mode_16_64 3
		.amdhsa_dx10_clamp 1
		.amdhsa_ieee_mode 1
		.amdhsa_fp16_overflow 0
		.amdhsa_tg_split 0
		.amdhsa_exception_fp_ieee_invalid_op 0
		.amdhsa_exception_fp_denorm_src 0
		.amdhsa_exception_fp_ieee_div_zero 0
		.amdhsa_exception_fp_ieee_overflow 0
		.amdhsa_exception_fp_ieee_underflow 0
		.amdhsa_exception_fp_ieee_inexact 0
		.amdhsa_exception_int_div_zero 0
	.end_amdhsa_kernel
	.section	.text._ZN2at6native12_GLOBAL__N_144conv_depthwise3d_cuda_backward_weight_kernelIddLi2ELi2EEEvN5torch10headeronly6detail27GenericPackedTensorAccessorINS5_14TensorAccessorIN3c108ArrayRefIlEEKT_Lm4ENS4_16DefaultPtrTraitsEiEENS_6detail16IndexBoundsCheckILm5EiEESC_Lm5ESD_iEESI_NS6_INS7_ISA_SB_Lm4ESD_iEESH_SB_Lm5ESD_iEEiiiiiiiii,"axG",@progbits,_ZN2at6native12_GLOBAL__N_144conv_depthwise3d_cuda_backward_weight_kernelIddLi2ELi2EEEvN5torch10headeronly6detail27GenericPackedTensorAccessorINS5_14TensorAccessorIN3c108ArrayRefIlEEKT_Lm4ENS4_16DefaultPtrTraitsEiEENS_6detail16IndexBoundsCheckILm5EiEESC_Lm5ESD_iEESI_NS6_INS7_ISA_SB_Lm4ESD_iEESH_SB_Lm5ESD_iEEiiiiiiiii,comdat
.Lfunc_end33:
	.size	_ZN2at6native12_GLOBAL__N_144conv_depthwise3d_cuda_backward_weight_kernelIddLi2ELi2EEEvN5torch10headeronly6detail27GenericPackedTensorAccessorINS5_14TensorAccessorIN3c108ArrayRefIlEEKT_Lm4ENS4_16DefaultPtrTraitsEiEENS_6detail16IndexBoundsCheckILm5EiEESC_Lm5ESD_iEESI_NS6_INS7_ISA_SB_Lm4ESD_iEESH_SB_Lm5ESD_iEEiiiiiiiii, .Lfunc_end33-_ZN2at6native12_GLOBAL__N_144conv_depthwise3d_cuda_backward_weight_kernelIddLi2ELi2EEEvN5torch10headeronly6detail27GenericPackedTensorAccessorINS5_14TensorAccessorIN3c108ArrayRefIlEEKT_Lm4ENS4_16DefaultPtrTraitsEiEENS_6detail16IndexBoundsCheckILm5EiEESC_Lm5ESD_iEESI_NS6_INS7_ISA_SB_Lm4ESD_iEESH_SB_Lm5ESD_iEEiiiiiiiii
                                        ; -- End function
	.section	.AMDGPU.csdata,"",@progbits
; Kernel info:
; codeLenInByte = 1816
; NumSgprs: 54
; NumVgprs: 22
; NumAgprs: 0
; TotalNumVgprs: 22
; ScratchSize: 0
; MemoryBound: 0
; FloatMode: 240
; IeeeMode: 1
; LDSByteSize: 0 bytes/workgroup (compile time only)
; SGPRBlocks: 6
; VGPRBlocks: 2
; NumSGPRsForWavesPerEU: 54
; NumVGPRsForWavesPerEU: 22
; AccumOffset: 24
; Occupancy: 8
; WaveLimiterHint : 1
; COMPUTE_PGM_RSRC2:SCRATCH_EN: 0
; COMPUTE_PGM_RSRC2:USER_SGPR: 6
; COMPUTE_PGM_RSRC2:TRAP_HANDLER: 0
; COMPUTE_PGM_RSRC2:TGID_X_EN: 1
; COMPUTE_PGM_RSRC2:TGID_Y_EN: 0
; COMPUTE_PGM_RSRC2:TGID_Z_EN: 0
; COMPUTE_PGM_RSRC2:TIDIG_COMP_CNT: 0
; COMPUTE_PGM_RSRC3_GFX90A:ACCUM_OFFSET: 5
; COMPUTE_PGM_RSRC3_GFX90A:TG_SPLIT: 0
	.section	.text._ZN2at6native12_GLOBAL__N_144conv_depthwise3d_cuda_backward_weight_kernelIddLin1ELin1EEEvN5torch10headeronly6detail27GenericPackedTensorAccessorINS5_14TensorAccessorIN3c108ArrayRefIlEEKT_Lm4ENS4_16DefaultPtrTraitsEiEENS_6detail16IndexBoundsCheckILm5EiEESC_Lm5ESD_iEESI_NS6_INS7_ISA_SB_Lm4ESD_iEESH_SB_Lm5ESD_iEEiiiiiiiii,"axG",@progbits,_ZN2at6native12_GLOBAL__N_144conv_depthwise3d_cuda_backward_weight_kernelIddLin1ELin1EEEvN5torch10headeronly6detail27GenericPackedTensorAccessorINS5_14TensorAccessorIN3c108ArrayRefIlEEKT_Lm4ENS4_16DefaultPtrTraitsEiEENS_6detail16IndexBoundsCheckILm5EiEESC_Lm5ESD_iEESI_NS6_INS7_ISA_SB_Lm4ESD_iEESH_SB_Lm5ESD_iEEiiiiiiiii,comdat
	.globl	_ZN2at6native12_GLOBAL__N_144conv_depthwise3d_cuda_backward_weight_kernelIddLin1ELin1EEEvN5torch10headeronly6detail27GenericPackedTensorAccessorINS5_14TensorAccessorIN3c108ArrayRefIlEEKT_Lm4ENS4_16DefaultPtrTraitsEiEENS_6detail16IndexBoundsCheckILm5EiEESC_Lm5ESD_iEESI_NS6_INS7_ISA_SB_Lm4ESD_iEESH_SB_Lm5ESD_iEEiiiiiiiii ; -- Begin function _ZN2at6native12_GLOBAL__N_144conv_depthwise3d_cuda_backward_weight_kernelIddLin1ELin1EEEvN5torch10headeronly6detail27GenericPackedTensorAccessorINS5_14TensorAccessorIN3c108ArrayRefIlEEKT_Lm4ENS4_16DefaultPtrTraitsEiEENS_6detail16IndexBoundsCheckILm5EiEESC_Lm5ESD_iEESI_NS6_INS7_ISA_SB_Lm4ESD_iEESH_SB_Lm5ESD_iEEiiiiiiiii
	.p2align	8
	.type	_ZN2at6native12_GLOBAL__N_144conv_depthwise3d_cuda_backward_weight_kernelIddLin1ELin1EEEvN5torch10headeronly6detail27GenericPackedTensorAccessorINS5_14TensorAccessorIN3c108ArrayRefIlEEKT_Lm4ENS4_16DefaultPtrTraitsEiEENS_6detail16IndexBoundsCheckILm5EiEESC_Lm5ESD_iEESI_NS6_INS7_ISA_SB_Lm4ESD_iEESH_SB_Lm5ESD_iEEiiiiiiiii,@function
_ZN2at6native12_GLOBAL__N_144conv_depthwise3d_cuda_backward_weight_kernelIddLin1ELin1EEEvN5torch10headeronly6detail27GenericPackedTensorAccessorINS5_14TensorAccessorIN3c108ArrayRefIlEEKT_Lm4ENS4_16DefaultPtrTraitsEiEENS_6detail16IndexBoundsCheckILm5EiEESC_Lm5ESD_iEESI_NS6_INS7_ISA_SB_Lm4ESD_iEESH_SB_Lm5ESD_iEEiiiiiiiii: ; @_ZN2at6native12_GLOBAL__N_144conv_depthwise3d_cuda_backward_weight_kernelIddLin1ELin1EEEvN5torch10headeronly6detail27GenericPackedTensorAccessorINS5_14TensorAccessorIN3c108ArrayRefIlEEKT_Lm4ENS4_16DefaultPtrTraitsEiEENS_6detail16IndexBoundsCheckILm5EiEESC_Lm5ESD_iEESI_NS6_INS7_ISA_SB_Lm4ESD_iEESH_SB_Lm5ESD_iEEiiiiiiiii
; %bb.0:
	s_load_dwordx4 s[16:19], s[4:5], 0x70
	s_add_u32 s28, s4, 0x60
	s_addc_u32 s29, s5, 0
	s_load_dwordx4 s[20:23], s[4:5], 0x3c
	s_load_dwordx4 s[24:27], s[4:5], 0xc
	s_waitcnt lgkmcnt(0)
	v_cvt_f32_u32_e32 v1, s18
	v_cvt_f32_u32_e32 v2, s17
	s_sub_i32 s0, 0, s18
	v_rcp_iflag_f32_e32 v1, v1
	v_rcp_iflag_f32_e32 v2, v2
	v_mul_f32_e32 v1, 0x4f7ffffe, v1
	v_cvt_u32_f32_e32 v1, v1
	v_mul_f32_e32 v2, 0x4f7ffffe, v2
	v_cvt_u32_f32_e32 v2, v2
	v_readfirstlane_b32 s1, v1
	s_mul_i32 s0, s0, s1
	s_mul_hi_u32 s0, s1, s0
	s_add_i32 s1, s1, s0
	s_mul_hi_u32 s0, s6, s1
	s_mul_i32 s1, s0, s18
	s_sub_i32 s1, s6, s1
	s_add_i32 s3, s0, 1
	s_sub_i32 s7, s1, s18
	s_cmp_ge_u32 s1, s18
	s_cselect_b32 s0, s3, s0
	s_cselect_b32 s1, s7, s1
	s_add_i32 s3, s0, 1
	s_cmp_ge_u32 s1, s18
	v_cvt_f32_u32_e32 v1, s16
	v_readfirstlane_b32 s2, v2
	s_cselect_b32 s7, s3, s0
	s_sub_i32 s0, 0, s17
	s_mul_i32 s0, s0, s2
	s_mul_hi_u32 s0, s2, s0
	s_add_i32 s2, s2, s0
	v_rcp_iflag_f32_e32 v1, v1
	s_mul_hi_u32 s0, s7, s2
	s_mul_i32 s1, s0, s17
	s_sub_i32 s1, s7, s1
	s_add_i32 s2, s0, 1
	s_sub_i32 s3, s1, s17
	v_mul_f32_e32 v1, 0x4f7ffffe, v1
	s_cmp_ge_u32 s1, s17
	v_cvt_u32_f32_e32 v1, v1
	s_cselect_b32 s0, s2, s0
	s_cselect_b32 s1, s3, s1
	s_add_i32 s2, s0, 1
	s_cmp_ge_u32 s1, s17
	s_cselect_b32 s30, s2, s0
	s_sub_i32 s0, 0, s16
	v_readfirstlane_b32 s1, v1
	s_mul_i32 s0, s0, s1
	s_mul_hi_u32 s0, s1, s0
	s_add_i32 s1, s1, s0
	s_mul_hi_u32 s0, s30, s1
	s_mul_i32 s1, s0, s16
	s_sub_i32 s1, s30, s1
	s_add_i32 s2, s0, 1
	s_sub_i32 s3, s1, s16
	s_cmp_ge_u32 s1, s16
	s_cselect_b32 s0, s2, s0
	s_cselect_b32 s1, s3, s1
	s_add_i32 s2, s0, 1
	s_cmp_ge_u32 s1, s16
	s_cselect_b32 s33, s2, s0
	s_abs_i32 s0, s20
	v_cvt_f32_u32_e32 v1, s0
	s_sub_i32 s3, 0, s0
	s_abs_i32 s2, s24
	s_xor_b32 s1, s24, s20
	v_rcp_iflag_f32_e32 v1, v1
	s_ashr_i32 s1, s1, 31
	v_mul_f32_e32 v1, 0x4f7ffffe, v1
	v_cvt_u32_f32_e32 v1, v1
	v_readfirstlane_b32 s8, v1
	s_mul_i32 s3, s3, s8
	s_mul_hi_u32 s3, s8, s3
	s_add_i32 s8, s8, s3
	s_mul_hi_u32 s3, s2, s8
	s_mul_i32 s8, s3, s0
	s_sub_i32 s2, s2, s8
	s_add_i32 s8, s3, 1
	s_sub_i32 s9, s2, s0
	s_cmp_ge_u32 s2, s0
	s_cselect_b32 s3, s8, s3
	s_cselect_b32 s2, s9, s2
	s_add_i32 s8, s3, 1
	s_cmp_ge_u32 s2, s0
	s_cselect_b32 s0, s8, s3
	s_xor_b32 s0, s0, s1
	s_sub_i32 s36, s0, s1
	s_abs_i32 s31, s36
	v_cvt_f32_u32_e32 v1, s31
	s_load_dword s0, s[4:5], 0x68
	v_rcp_iflag_f32_e32 v1, v1
	s_waitcnt lgkmcnt(0)
	s_cmp_ge_i32 s33, s0
	v_mul_f32_e32 v1, 0x4f7ffffe, v1
	v_cvt_u32_f32_e32 v1, v1
	v_readfirstlane_b32 s37, v1
	s_cbranch_scc1 .LBB34_28
; %bb.1:
	s_mul_i32 s18, s7, s18
	s_sub_i32 s18, s6, s18
	s_mul_i32 s6, s30, s17
	s_load_dwordx4 s[0:3], s[28:29], 0x44
	s_load_dwordx2 s[34:35], s[28:29], 0x0
	s_load_dwordx8 s[8:15], s[28:29], 0x24
	s_sub_i32 s20, s7, s6
	s_load_dword s6, s[4:5], 0xc4
	s_load_dword s47, s[4:5], 0x38
	s_mul_i32 s7, s33, s16
	v_lshrrev_b32_e32 v1, 6, v0
	s_sub_i32 s24, s30, s7
	s_waitcnt lgkmcnt(0)
	s_and_b32 s46, s6, 0xffff
	s_mul_i32 s47, s47, s25
	v_cmp_gt_i32_e32 vcc, s47, v1
	v_pk_mov_b32 v[2:3], 0, 0
	s_and_saveexec_b64 s[6:7], vcc
	s_cbranch_execz .LBB34_23
; %bb.2:
	s_sub_i32 s29, 0, s31
	s_mul_i32 s29, s29, s37
	s_mul_hi_u32 s29, s37, s29
	s_abs_i32 s28, s33
	s_add_i32 s37, s37, s29
	s_ashr_i32 s16, s33, 31
	s_ashr_i32 s17, s36, 31
	s_mul_hi_u32 s29, s28, s37
	s_xor_b32 s16, s16, s17
	s_mul_i32 s17, s29, s31
	s_sub_i32 s17, s28, s17
	s_lshr_b32 s48, s46, 6
	s_add_i32 s28, s29, 1
	s_sub_i32 s30, s17, s31
	s_cmp_ge_u32 s17, s31
	s_cselect_b32 s28, s28, s29
	s_cselect_b32 s17, s30, s17
	s_add_i32 s29, s28, 1
	s_cmp_ge_u32 s17, s31
	s_cselect_b32 s17, s29, s28
	s_abs_i32 s28, s25
	v_cvt_f32_u32_e32 v2, s28
	s_xor_b32 s17, s17, s16
	s_sub_i32 s44, s17, s16
	s_sub_i32 s16, 0, s28
	v_rcp_iflag_f32_e32 v2, v2
	s_ashr_i32 s36, s25, 31
	s_mul_i32 s1, s24, s1
	s_mul_i32 s3, s18, s3
	v_mul_f32_e32 v2, 0x4f7ffffe, v2
	v_cvt_u32_f32_e32 v2, v2
	v_and_b32_e32 v4, 63, v0
	v_mov_b32_e32 v13, 0
	v_lshlrev_b32_e32 v16, 3, v4
	v_mul_lo_u32 v3, s16, v2
	v_mul_hi_u32 v3, v2, v3
	v_add_u32_e32 v2, v2, v3
	v_mul_hi_u32 v2, v1, v2
	v_mul_lo_u32 v3, v2, s28
	v_sub_u32_e32 v3, v1, v3
	v_add_u32_e32 v5, 1, v2
	v_cmp_le_u32_e32 vcc, s28, v3
	v_cndmask_b32_e32 v2, v2, v5, vcc
	v_subrev_u32_e32 v5, s28, v3
	v_cndmask_b32_e32 v3, v3, v5, vcc
	v_add_u32_e32 v5, 1, v2
	v_cmp_le_u32_e32 vcc, s28, v3
	s_load_dwordx2 s[16:17], s[4:5], 0x0
	s_load_dwordx4 s[28:31], s[4:5], 0x1c
	v_cndmask_b32_e32 v2, v2, v5, vcc
	v_xor_b32_e32 v2, s36, v2
	v_subrev_u32_e32 v11, s36, v2
	s_load_dwordx2 s[42:43], s[4:5], 0x30
	s_load_dwordx4 s[36:39], s[4:5], 0x4c
	s_waitcnt lgkmcnt(0)
	s_mul_i32 s40, s29, s33
	s_ashr_i32 s41, s40, 31
	s_sub_i32 s31, s1, s14
	s_lshl_b64 s[4:5], s[40:41], 3
	s_add_u32 s29, s16, s4
	s_mul_i32 s4, s37, s44
	s_addc_u32 s39, s17, s5
	s_ashr_i32 s5, s4, 31
	s_lshl_b64 s[4:5], s[4:5], 3
	s_add_u32 s37, s42, s4
	s_addc_u32 s49, s43, s5
	s_abs_i32 s1, s27
	v_cvt_f32_u32_e32 v2, s1
	v_mul_lo_u32 v3, v11, s25
	s_sub_i32 s50, s3, s0
	s_mul_i32 s0, s20, s2
	v_rcp_iflag_f32_e32 v2, v2
	s_sub_i32 s2, 0, s1
	v_sub_u32_e32 v12, v1, v3
	s_sub_i32 s51, s0, s15
	v_mul_f32_e32 v2, 0x4f7ffffe, v2
	v_cvt_u32_f32_e32 v2, v2
	s_ashr_i32 s0, s27, 31
	s_mov_b64 s[14:15], 0
	v_mul_lo_u32 v3, s2, v2
	v_mul_hi_u32 v3, v2, v3
	v_add_u32_e32 v2, v2, v3
	v_mul_hi_u32 v2, v4, v2
	v_mul_lo_u32 v3, v2, s1
	v_sub_u32_e32 v3, v4, v3
	v_add_u32_e32 v5, 1, v2
	v_cmp_le_u32_e32 vcc, s1, v3
	v_cndmask_b32_e32 v2, v2, v5, vcc
	v_subrev_u32_e32 v5, s1, v3
	v_cndmask_b32_e32 v3, v3, v5, vcc
	v_add_u32_e32 v5, 1, v2
	v_cmp_le_u32_e32 vcc, s1, v3
	v_cndmask_b32_e32 v2, v2, v5, vcc
	v_xor_b32_e32 v2, s0, v2
	v_subrev_u32_e32 v14, s0, v2
	v_mul_lo_u32 v2, v14, s27
	v_cmp_gt_i32_e64 s[0:1], s26, v14
	v_sub_u32_e32 v15, v4, v2
	v_pk_mov_b32 v[2:3], 0, 0
	s_branch .LBB34_6
.LBB34_3:                               ;   in Loop: Header=BB34_6 Depth=1
	s_or_b64 exec, exec, s[42:43]
.LBB34_4:                               ;   in Loop: Header=BB34_6 Depth=1
	s_or_b64 exec, exec, s[40:41]
.LBB34_5:                               ;   in Loop: Header=BB34_6 Depth=1
	s_or_b64 exec, exec, s[16:17]
	v_add_u32_e32 v1, s48, v1
	v_cmp_le_i32_e32 vcc, s47, v1
	s_or_b64 s[14:15], vcc, s[14:15]
	v_add_u32_e32 v12, s48, v12
	s_andn2_b64 exec, exec, s[14:15]
	s_cbranch_execz .LBB34_22
.LBB34_6:                               ; =>This Loop Header: Depth=1
                                        ;     Child Loop BB34_8 Depth 2
                                        ;     Child Loop BB34_14 Depth 2
                                        ;       Child Loop BB34_20 Depth 3
	v_cmp_le_i32_e32 vcc, s25, v12
	s_and_saveexec_b64 s[2:3], vcc
	s_cbranch_execz .LBB34_10
; %bb.7:                                ;   in Loop: Header=BB34_6 Depth=1
	s_mov_b64 s[4:5], 0
.LBB34_8:                               ;   Parent Loop BB34_6 Depth=1
                                        ; =>  This Inner Loop Header: Depth=2
	v_subrev_u32_e32 v12, s25, v12
	v_cmp_gt_i32_e32 vcc, s25, v12
	s_or_b64 s[4:5], vcc, s[4:5]
	v_add_u32_e32 v11, 1, v11
	s_andn2_b64 exec, exec, s[4:5]
	s_cbranch_execnz .LBB34_8
; %bb.9:                                ;   in Loop: Header=BB34_6 Depth=1
	s_or_b64 exec, exec, s[4:5]
.LBB34_10:                              ;   in Loop: Header=BB34_6 Depth=1
	s_or_b64 exec, exec, s[2:3]
	v_mul_lo_u32 v4, v12, s11
	v_add_u32_e32 v4, s31, v4
	v_cmp_lt_i32_e32 vcc, -1, v4
	v_cmp_gt_i32_e64 s[2:3], s21, v4
	s_and_b64 s[2:3], vcc, s[2:3]
	s_and_saveexec_b64 s[16:17], s[2:3]
	s_cbranch_execz .LBB34_5
; %bb.11:                               ;   in Loop: Header=BB34_6 Depth=1
	s_and_saveexec_b64 s[40:41], s[0:1]
	s_cbranch_execz .LBB34_4
; %bb.12:                               ;   in Loop: Header=BB34_6 Depth=1
	v_mul_lo_u32 v6, s36, v11
	v_ashrrev_i32_e32 v7, 31, v6
	v_lshlrev_b64 v[6:7], 3, v[6:7]
	v_mov_b32_e32 v5, s49
	v_add_co_u32_e32 v6, vcc, s37, v6
	v_mul_lo_u32 v4, s38, v4
	v_addc_co_u32_e32 v7, vcc, v5, v7, vcc
	v_ashrrev_i32_e32 v5, 31, v4
	v_lshlrev_b64 v[4:5], 3, v[4:5]
	v_add_co_u32_e32 v17, vcc, v6, v4
	v_mul_lo_u32 v4, s28, v11
	v_addc_co_u32_e32 v18, vcc, v7, v5, vcc
	v_ashrrev_i32_e32 v5, 31, v4
	v_lshlrev_b64 v[4:5], 3, v[4:5]
	v_mov_b32_e32 v6, s39
	v_add_co_u32_e32 v7, vcc, s29, v4
	v_mul_lo_u32 v4, s30, v12
	v_addc_co_u32_e32 v6, vcc, v6, v5, vcc
	v_ashrrev_i32_e32 v5, 31, v4
	v_lshlrev_b64 v[4:5], 3, v[4:5]
	v_add_co_u32_e32 v4, vcc, v7, v4
	v_addc_co_u32_e32 v5, vcc, v6, v5, vcc
	v_add_co_u32_e32 v4, vcc, v4, v16
	v_addc_co_u32_e32 v5, vcc, 0, v5, vcc
	s_mov_b64 s[42:43], 0
	v_mov_b32_e32 v19, v15
	v_mov_b32_e32 v20, v14
	s_branch .LBB34_14
.LBB34_13:                              ;   in Loop: Header=BB34_14 Depth=2
	s_or_b64 exec, exec, s[2:3]
	v_add_co_u32_e32 v4, vcc, 0x200, v4
	v_addc_co_u32_e32 v5, vcc, 0, v5, vcc
	v_cmp_le_i32_e32 vcc, s26, v20
	s_or_b64 s[42:43], vcc, s[42:43]
	s_waitcnt vmcnt(0)
	v_fmac_f64_e32 v[2:3], v[6:7], v[8:9]
	s_andn2_b64 exec, exec, s[42:43]
	s_cbranch_execz .LBB34_3
.LBB34_14:                              ;   Parent Loop BB34_6 Depth=1
                                        ; =>  This Loop Header: Depth=2
                                        ;       Child Loop BB34_20 Depth 3
	global_load_dwordx2 v[6:7], v[4:5], off
	v_mul_lo_u32 v8, v19, s13
	v_add_u32_e32 v10, s50, v8
	v_cmp_lt_i32_e32 vcc, -1, v10
	v_pk_mov_b32 v[8:9], 0, 0
	s_and_saveexec_b64 s[44:45], vcc
	s_cbranch_execz .LBB34_18
; %bb.15:                               ;   in Loop: Header=BB34_14 Depth=2
	v_mul_lo_u32 v8, v20, s12
	v_add_u32_e32 v21, s51, v8
	v_cmp_gt_i32_e32 vcc, s23, v10
	v_cmp_gt_i32_e64 s[4:5], s22, v21
	v_cmp_lt_i32_e64 s[2:3], -1, v21
	s_and_b64 s[4:5], vcc, s[4:5]
	s_and_b64 s[4:5], s[4:5], s[2:3]
	v_pk_mov_b32 v[8:9], 0, 0
	s_and_saveexec_b64 s[2:3], s[4:5]
	s_cbranch_execz .LBB34_17
; %bb.16:                               ;   in Loop: Header=BB34_14 Depth=2
	v_mad_u64_u32 v[8:9], s[4:5], v21, s23, v[10:11]
	v_mov_b32_e32 v9, v13
	v_lshlrev_b64 v[8:9], 3, v[8:9]
	v_add_co_u32_e32 v8, vcc, v17, v8
	v_addc_co_u32_e32 v9, vcc, v18, v9, vcc
	global_load_dwordx2 v[8:9], v[8:9], off
.LBB34_17:                              ;   in Loop: Header=BB34_14 Depth=2
	s_or_b64 exec, exec, s[2:3]
.LBB34_18:                              ;   in Loop: Header=BB34_14 Depth=2
	s_or_b64 exec, exec, s[44:45]
	v_add_u32_e32 v19, 64, v19
	v_cmp_le_i32_e32 vcc, s27, v19
	s_and_saveexec_b64 s[2:3], vcc
	s_cbranch_execz .LBB34_13
; %bb.19:                               ;   in Loop: Header=BB34_14 Depth=2
	s_mov_b64 s[4:5], 0
.LBB34_20:                              ;   Parent Loop BB34_6 Depth=1
                                        ;     Parent Loop BB34_14 Depth=2
                                        ; =>    This Inner Loop Header: Depth=3
	v_subrev_u32_e32 v19, s27, v19
	v_cmp_gt_i32_e32 vcc, s27, v19
	s_or_b64 s[4:5], vcc, s[4:5]
	v_add_u32_e32 v20, 1, v20
	s_andn2_b64 exec, exec, s[4:5]
	s_cbranch_execnz .LBB34_20
; %bb.21:                               ;   in Loop: Header=BB34_14 Depth=2
	s_or_b64 exec, exec, s[4:5]
	s_branch .LBB34_13
.LBB34_22:
	s_or_b64 exec, exec, s[14:15]
.LBB34_23:
	s_or_b64 exec, exec, s[6:7]
	s_bcnt1_i32_b32 s0, s46
	v_lshl_add_u32 v1, v0, 3, 0
	s_cmp_lg_u32 s0, 1
	s_mov_b64 s[0:1], -1
	ds_write_b64 v1, v[2:3]
	s_waitcnt lgkmcnt(0)
	s_barrier
	s_cbranch_scc1 .LBB34_32
; %bb.24:
	s_andn2_b64 vcc, exec, s[0:1]
	s_cbranch_vccnz .LBB34_28
.LBB34_25:
	s_cmp_lt_u32 s46, 2
	s_cbranch_scc0 .LBB34_30
.LBB34_26:
	v_cmp_eq_u32_e32 vcc, 0, v0
	s_and_saveexec_b64 s[0:1], vcc
	s_cbranch_execz .LBB34_28
; %bb.27:
	s_mul_i32 s0, s19, s33
	s_ashr_i32 s1, s0, 31
	s_lshl_b64 s[0:1], s[0:1], 3
	s_add_u32 s2, s34, s0
	s_mul_i32 s0, s8, s24
	s_addc_u32 s3, s35, s1
	s_ashr_i32 s1, s0, 31
	s_lshl_b64 s[0:1], s[0:1], 3
	s_add_u32 s2, s2, s0
	s_mul_i32 s0, s9, s20
	s_addc_u32 s3, s3, s1
	s_ashr_i32 s1, s0, 31
	s_lshl_b64 s[0:1], s[0:1], 3
	v_mov_b32_e32 v2, 0
	s_add_u32 s2, s2, s0
	s_mul_i32 s0, s10, s18
	ds_read_b64 v[0:1], v2
	s_addc_u32 s3, s3, s1
	s_ashr_i32 s1, s0, 31
	s_lshl_b64 s[0:1], s[0:1], 3
	s_add_u32 s0, s2, s0
	s_addc_u32 s1, s3, s1
	s_waitcnt lgkmcnt(0)
	global_store_dwordx2 v2, v[0:1], s[0:1]
.LBB34_28:
	s_endpgm
.LBB34_29:                              ;   in Loop: Header=BB34_30 Depth=1
	s_or_b64 exec, exec, s[0:1]
	s_cmp_lt_u32 s46, 4
	s_mov_b32 s46, s2
	s_waitcnt lgkmcnt(0)
	s_barrier
	s_cbranch_scc1 .LBB34_26
.LBB34_30:                              ; =>This Inner Loop Header: Depth=1
	s_lshr_b32 s2, s46, 1
	v_cmp_gt_u32_e32 vcc, s2, v0
	s_and_saveexec_b64 s[0:1], vcc
	s_cbranch_execz .LBB34_29
; %bb.31:                               ;   in Loop: Header=BB34_30 Depth=1
	v_lshl_add_u32 v2, s2, 3, v1
	ds_read_b64 v[2:3], v2
	ds_read_b64 v[4:5], v1
	s_waitcnt lgkmcnt(0)
	v_add_f64 v[2:3], v[2:3], v[4:5]
	ds_write_b64 v1, v[2:3]
	s_branch .LBB34_29
.LBB34_32:
	s_trap 2
	; divergent unreachable
	s_cbranch_execz .LBB34_25
	s_branch .LBB34_28
	.section	.rodata,"a",@progbits
	.p2align	6, 0x0
	.amdhsa_kernel _ZN2at6native12_GLOBAL__N_144conv_depthwise3d_cuda_backward_weight_kernelIddLin1ELin1EEEvN5torch10headeronly6detail27GenericPackedTensorAccessorINS5_14TensorAccessorIN3c108ArrayRefIlEEKT_Lm4ENS4_16DefaultPtrTraitsEiEENS_6detail16IndexBoundsCheckILm5EiEESC_Lm5ESD_iEESI_NS6_INS7_ISA_SB_Lm4ESD_iEESH_SB_Lm5ESD_iEEiiiiiiiii
		.amdhsa_group_segment_fixed_size 0
		.amdhsa_private_segment_fixed_size 0
		.amdhsa_kernarg_size 440
		.amdhsa_user_sgpr_count 6
		.amdhsa_user_sgpr_private_segment_buffer 1
		.amdhsa_user_sgpr_dispatch_ptr 0
		.amdhsa_user_sgpr_queue_ptr 0
		.amdhsa_user_sgpr_kernarg_segment_ptr 1
		.amdhsa_user_sgpr_dispatch_id 0
		.amdhsa_user_sgpr_flat_scratch_init 0
		.amdhsa_user_sgpr_kernarg_preload_length 0
		.amdhsa_user_sgpr_kernarg_preload_offset 0
		.amdhsa_user_sgpr_private_segment_size 0
		.amdhsa_uses_dynamic_stack 0
		.amdhsa_system_sgpr_private_segment_wavefront_offset 0
		.amdhsa_system_sgpr_workgroup_id_x 1
		.amdhsa_system_sgpr_workgroup_id_y 0
		.amdhsa_system_sgpr_workgroup_id_z 0
		.amdhsa_system_sgpr_workgroup_info 0
		.amdhsa_system_vgpr_workitem_id 0
		.amdhsa_next_free_vgpr 22
		.amdhsa_next_free_sgpr 52
		.amdhsa_accum_offset 24
		.amdhsa_reserve_vcc 1
		.amdhsa_reserve_flat_scratch 0
		.amdhsa_float_round_mode_32 0
		.amdhsa_float_round_mode_16_64 0
		.amdhsa_float_denorm_mode_32 3
		.amdhsa_float_denorm_mode_16_64 3
		.amdhsa_dx10_clamp 1
		.amdhsa_ieee_mode 1
		.amdhsa_fp16_overflow 0
		.amdhsa_tg_split 0
		.amdhsa_exception_fp_ieee_invalid_op 0
		.amdhsa_exception_fp_denorm_src 0
		.amdhsa_exception_fp_ieee_div_zero 0
		.amdhsa_exception_fp_ieee_overflow 0
		.amdhsa_exception_fp_ieee_underflow 0
		.amdhsa_exception_fp_ieee_inexact 0
		.amdhsa_exception_int_div_zero 0
	.end_amdhsa_kernel
	.section	.text._ZN2at6native12_GLOBAL__N_144conv_depthwise3d_cuda_backward_weight_kernelIddLin1ELin1EEEvN5torch10headeronly6detail27GenericPackedTensorAccessorINS5_14TensorAccessorIN3c108ArrayRefIlEEKT_Lm4ENS4_16DefaultPtrTraitsEiEENS_6detail16IndexBoundsCheckILm5EiEESC_Lm5ESD_iEESI_NS6_INS7_ISA_SB_Lm4ESD_iEESH_SB_Lm5ESD_iEEiiiiiiiii,"axG",@progbits,_ZN2at6native12_GLOBAL__N_144conv_depthwise3d_cuda_backward_weight_kernelIddLin1ELin1EEEvN5torch10headeronly6detail27GenericPackedTensorAccessorINS5_14TensorAccessorIN3c108ArrayRefIlEEKT_Lm4ENS4_16DefaultPtrTraitsEiEENS_6detail16IndexBoundsCheckILm5EiEESC_Lm5ESD_iEESI_NS6_INS7_ISA_SB_Lm4ESD_iEESH_SB_Lm5ESD_iEEiiiiiiiii,comdat
.Lfunc_end34:
	.size	_ZN2at6native12_GLOBAL__N_144conv_depthwise3d_cuda_backward_weight_kernelIddLin1ELin1EEEvN5torch10headeronly6detail27GenericPackedTensorAccessorINS5_14TensorAccessorIN3c108ArrayRefIlEEKT_Lm4ENS4_16DefaultPtrTraitsEiEENS_6detail16IndexBoundsCheckILm5EiEESC_Lm5ESD_iEESI_NS6_INS7_ISA_SB_Lm4ESD_iEESH_SB_Lm5ESD_iEEiiiiiiiii, .Lfunc_end34-_ZN2at6native12_GLOBAL__N_144conv_depthwise3d_cuda_backward_weight_kernelIddLin1ELin1EEEvN5torch10headeronly6detail27GenericPackedTensorAccessorINS5_14TensorAccessorIN3c108ArrayRefIlEEKT_Lm4ENS4_16DefaultPtrTraitsEiEENS_6detail16IndexBoundsCheckILm5EiEESC_Lm5ESD_iEESI_NS6_INS7_ISA_SB_Lm4ESD_iEESH_SB_Lm5ESD_iEEiiiiiiiii
                                        ; -- End function
	.section	.AMDGPU.csdata,"",@progbits
; Kernel info:
; codeLenInByte = 1812
; NumSgprs: 56
; NumVgprs: 22
; NumAgprs: 0
; TotalNumVgprs: 22
; ScratchSize: 0
; MemoryBound: 0
; FloatMode: 240
; IeeeMode: 1
; LDSByteSize: 0 bytes/workgroup (compile time only)
; SGPRBlocks: 6
; VGPRBlocks: 2
; NumSGPRsForWavesPerEU: 56
; NumVGPRsForWavesPerEU: 22
; AccumOffset: 24
; Occupancy: 8
; WaveLimiterHint : 1
; COMPUTE_PGM_RSRC2:SCRATCH_EN: 0
; COMPUTE_PGM_RSRC2:USER_SGPR: 6
; COMPUTE_PGM_RSRC2:TRAP_HANDLER: 0
; COMPUTE_PGM_RSRC2:TGID_X_EN: 1
; COMPUTE_PGM_RSRC2:TGID_Y_EN: 0
; COMPUTE_PGM_RSRC2:TGID_Z_EN: 0
; COMPUTE_PGM_RSRC2:TIDIG_COMP_CNT: 0
; COMPUTE_PGM_RSRC3_GFX90A:ACCUM_OFFSET: 5
; COMPUTE_PGM_RSRC3_GFX90A:TG_SPLIT: 0
	.section	.text._ZN2at6native12_GLOBAL__N_144conv_depthwise3d_cuda_backward_weight_kernelIffLi1ELi1EEEvN5torch10headeronly6detail27GenericPackedTensorAccessorINS5_14TensorAccessorIN3c108ArrayRefIlEEKT_Lm4ENS4_16DefaultPtrTraitsEiEENS_6detail16IndexBoundsCheckILm5EiEESC_Lm5ESD_iEESI_NS6_INS7_ISA_SB_Lm4ESD_iEESH_SB_Lm5ESD_iEEiiiiiiiii,"axG",@progbits,_ZN2at6native12_GLOBAL__N_144conv_depthwise3d_cuda_backward_weight_kernelIffLi1ELi1EEEvN5torch10headeronly6detail27GenericPackedTensorAccessorINS5_14TensorAccessorIN3c108ArrayRefIlEEKT_Lm4ENS4_16DefaultPtrTraitsEiEENS_6detail16IndexBoundsCheckILm5EiEESC_Lm5ESD_iEESI_NS6_INS7_ISA_SB_Lm4ESD_iEESH_SB_Lm5ESD_iEEiiiiiiiii,comdat
	.globl	_ZN2at6native12_GLOBAL__N_144conv_depthwise3d_cuda_backward_weight_kernelIffLi1ELi1EEEvN5torch10headeronly6detail27GenericPackedTensorAccessorINS5_14TensorAccessorIN3c108ArrayRefIlEEKT_Lm4ENS4_16DefaultPtrTraitsEiEENS_6detail16IndexBoundsCheckILm5EiEESC_Lm5ESD_iEESI_NS6_INS7_ISA_SB_Lm4ESD_iEESH_SB_Lm5ESD_iEEiiiiiiiii ; -- Begin function _ZN2at6native12_GLOBAL__N_144conv_depthwise3d_cuda_backward_weight_kernelIffLi1ELi1EEEvN5torch10headeronly6detail27GenericPackedTensorAccessorINS5_14TensorAccessorIN3c108ArrayRefIlEEKT_Lm4ENS4_16DefaultPtrTraitsEiEENS_6detail16IndexBoundsCheckILm5EiEESC_Lm5ESD_iEESI_NS6_INS7_ISA_SB_Lm4ESD_iEESH_SB_Lm5ESD_iEEiiiiiiiii
	.p2align	8
	.type	_ZN2at6native12_GLOBAL__N_144conv_depthwise3d_cuda_backward_weight_kernelIffLi1ELi1EEEvN5torch10headeronly6detail27GenericPackedTensorAccessorINS5_14TensorAccessorIN3c108ArrayRefIlEEKT_Lm4ENS4_16DefaultPtrTraitsEiEENS_6detail16IndexBoundsCheckILm5EiEESC_Lm5ESD_iEESI_NS6_INS7_ISA_SB_Lm4ESD_iEESH_SB_Lm5ESD_iEEiiiiiiiii,@function
_ZN2at6native12_GLOBAL__N_144conv_depthwise3d_cuda_backward_weight_kernelIffLi1ELi1EEEvN5torch10headeronly6detail27GenericPackedTensorAccessorINS5_14TensorAccessorIN3c108ArrayRefIlEEKT_Lm4ENS4_16DefaultPtrTraitsEiEENS_6detail16IndexBoundsCheckILm5EiEESC_Lm5ESD_iEESI_NS6_INS7_ISA_SB_Lm4ESD_iEESH_SB_Lm5ESD_iEEiiiiiiiii: ; @_ZN2at6native12_GLOBAL__N_144conv_depthwise3d_cuda_backward_weight_kernelIffLi1ELi1EEEvN5torch10headeronly6detail27GenericPackedTensorAccessorINS5_14TensorAccessorIN3c108ArrayRefIlEEKT_Lm4ENS4_16DefaultPtrTraitsEiEENS_6detail16IndexBoundsCheckILm5EiEESC_Lm5ESD_iEESI_NS6_INS7_ISA_SB_Lm4ESD_iEESH_SB_Lm5ESD_iEEiiiiiiiii
; %bb.0:
	s_load_dwordx4 s[8:11], s[4:5], 0x70
	s_add_u32 s0, s4, 0x60
	s_addc_u32 s1, s5, 0
	s_load_dwordx4 s[16:19], s[4:5], 0x3c
	s_load_dwordx4 s[20:23], s[4:5], 0xc
	s_waitcnt lgkmcnt(0)
	v_cvt_f32_u32_e32 v1, s10
	v_cvt_f32_u32_e32 v2, s9
	s_sub_i32 s2, 0, s10
	v_rcp_iflag_f32_e32 v1, v1
	v_rcp_iflag_f32_e32 v2, v2
	v_mul_f32_e32 v1, 0x4f7ffffe, v1
	v_cvt_u32_f32_e32 v1, v1
	v_mul_f32_e32 v2, 0x4f7ffffe, v2
	v_cvt_u32_f32_e32 v2, v2
	v_readfirstlane_b32 s3, v1
	s_mul_i32 s2, s2, s3
	s_mul_hi_u32 s2, s3, s2
	s_add_i32 s3, s3, s2
	s_mul_hi_u32 s2, s6, s3
	s_mul_i32 s3, s2, s10
	s_sub_i32 s3, s6, s3
	s_add_i32 s12, s2, 1
	s_sub_i32 s13, s3, s10
	s_cmp_ge_u32 s3, s10
	s_cselect_b32 s2, s12, s2
	s_cselect_b32 s3, s13, s3
	s_add_i32 s12, s2, 1
	s_cmp_ge_u32 s3, s10
	v_cvt_f32_u32_e32 v1, s8
	v_readfirstlane_b32 s7, v2
	s_cselect_b32 s2, s12, s2
	s_sub_i32 s3, 0, s9
	s_mul_i32 s3, s3, s7
	s_mul_hi_u32 s3, s7, s3
	s_add_i32 s7, s7, s3
	v_rcp_iflag_f32_e32 v1, v1
	s_mul_hi_u32 s3, s2, s7
	s_mul_i32 s7, s3, s9
	s_sub_i32 s7, s2, s7
	s_add_i32 s12, s3, 1
	s_sub_i32 s13, s7, s9
	v_mul_f32_e32 v1, 0x4f7ffffe, v1
	s_cmp_ge_u32 s7, s9
	v_cvt_u32_f32_e32 v1, v1
	s_cselect_b32 s3, s12, s3
	s_cselect_b32 s7, s13, s7
	s_add_i32 s12, s3, 1
	s_cmp_ge_u32 s7, s9
	s_cselect_b32 s3, s12, s3
	s_sub_i32 s7, 0, s8
	v_readfirstlane_b32 s12, v1
	s_mul_i32 s7, s7, s12
	s_mul_hi_u32 s7, s12, s7
	s_add_i32 s12, s12, s7
	s_mul_hi_u32 s7, s3, s12
	s_mul_i32 s12, s7, s8
	s_sub_i32 s12, s3, s12
	s_add_i32 s13, s7, 1
	s_sub_i32 s14, s12, s8
	s_cmp_ge_u32 s12, s8
	s_cselect_b32 s7, s13, s7
	s_cselect_b32 s12, s14, s12
	s_add_i32 s13, s7, 1
	s_cmp_ge_u32 s12, s8
	s_cselect_b32 s33, s13, s7
	s_abs_i32 s7, s16
	v_cvt_f32_u32_e32 v1, s7
	s_sub_i32 s14, 0, s7
	s_abs_i32 s13, s20
	s_xor_b32 s12, s20, s16
	v_rcp_iflag_f32_e32 v1, v1
	s_ashr_i32 s12, s12, 31
	v_mul_f32_e32 v1, 0x4f7ffffe, v1
	v_cvt_u32_f32_e32 v1, v1
	v_readfirstlane_b32 s15, v1
	s_mul_i32 s14, s14, s15
	s_mul_hi_u32 s14, s15, s14
	s_add_i32 s15, s15, s14
	s_mul_hi_u32 s14, s13, s15
	s_mul_i32 s15, s14, s7
	s_sub_i32 s13, s13, s15
	s_add_i32 s15, s14, 1
	s_sub_i32 s16, s13, s7
	s_cmp_ge_u32 s13, s7
	s_cselect_b32 s14, s15, s14
	s_cselect_b32 s13, s16, s13
	s_add_i32 s15, s14, 1
	s_cmp_ge_u32 s13, s7
	s_cselect_b32 s7, s15, s14
	s_xor_b32 s7, s7, s12
	s_sub_i32 s25, s7, s12
	s_abs_i32 s24, s25
	v_cvt_f32_u32_e32 v1, s24
	s_load_dword s7, s[4:5], 0x68
	v_rcp_iflag_f32_e32 v1, v1
	s_waitcnt lgkmcnt(0)
	s_cmp_ge_i32 s33, s7
	v_mul_f32_e32 v1, 0x4f7ffffe, v1
	v_cvt_u32_f32_e32 v1, v1
	v_readfirstlane_b32 s26, v1
	s_cbranch_scc1 .LBB35_28
; %bb.1:
	s_load_dwordx2 s[34:35], s[0:1], 0x0
	s_load_dwordx4 s[12:15], s[0:1], 0x24
	s_mul_i32 s0, s2, s10
	s_sub_i32 s10, s6, s0
	s_mul_i32 s0, s3, s9
	s_sub_i32 s16, s2, s0
	s_load_dword s0, s[4:5], 0xc4
	s_load_dword s45, s[4:5], 0x38
	s_mul_i32 s1, s33, s8
	v_lshrrev_b32_e32 v1, 6, v0
	s_sub_i32 s20, s3, s1
	s_waitcnt lgkmcnt(0)
	s_and_b32 s44, s0, 0xffff
	s_mul_i32 s45, s45, s21
	v_cmp_gt_i32_e32 vcc, s45, v1
	v_mov_b32_e32 v8, 0
	s_and_saveexec_b64 s[6:7], vcc
	s_cbranch_execz .LBB35_23
; %bb.2:
	s_sub_i32 s3, 0, s24
	s_mul_i32 s3, s3, s26
	s_mul_hi_u32 s3, s26, s3
	s_abs_i32 s2, s33
	s_add_i32 s26, s26, s3
	s_ashr_i32 s0, s33, 31
	s_ashr_i32 s1, s25, 31
	s_mul_hi_u32 s3, s2, s26
	s_xor_b32 s25, s0, s1
	s_mul_i32 s0, s3, s24
	s_sub_i32 s0, s2, s0
	s_lshr_b32 s46, s44, 6
	s_add_i32 s1, s3, 1
	s_sub_i32 s2, s0, s24
	s_cmp_ge_u32 s0, s24
	s_cselect_b32 s1, s1, s3
	s_cselect_b32 s0, s2, s0
	s_add_i32 s2, s1, 1
	s_cmp_ge_u32 s0, s24
	s_cselect_b32 s24, s2, s1
	s_abs_i32 s26, s21
	v_cvt_f32_u32_e32 v3, s26
	s_xor_b32 s24, s24, s25
	s_sub_i32 s42, s24, s25
	s_sub_i32 s24, 0, s26
	v_rcp_iflag_f32_e32 v3, v3
	s_load_dwordx4 s[0:3], s[4:5], 0x9c
	s_load_dwordx2 s[8:9], s[4:5], 0xac
	s_ashr_i32 s28, s21, 31
	v_and_b32_e32 v2, 63, v0
	v_mul_f32_e32 v3, 0x4f7ffffe, v3
	v_cvt_u32_f32_e32 v3, v3
	s_waitcnt lgkmcnt(0)
	s_mul_i32 s3, s20, s3
	v_mov_b32_e32 v7, 0
	v_lshlrev_b32_e32 v11, 2, v2
	v_mul_lo_u32 v4, s24, v3
	v_mul_hi_u32 v4, v3, v4
	v_add_u32_e32 v3, v3, v4
	v_mul_hi_u32 v3, v1, v3
	v_mul_lo_u32 v4, v3, s26
	v_sub_u32_e32 v4, v1, v4
	v_add_u32_e32 v5, 1, v3
	v_cmp_le_u32_e32 vcc, s26, v4
	v_cndmask_b32_e32 v3, v3, v5, vcc
	v_subrev_u32_e32 v5, s26, v4
	v_cndmask_b32_e32 v4, v4, v5, vcc
	v_add_u32_e32 v5, 1, v3
	v_cmp_le_u32_e32 vcc, s26, v4
	s_load_dwordx2 s[36:37], s[4:5], 0x0
	s_load_dwordx4 s[24:27], s[4:5], 0x1c
	v_cndmask_b32_e32 v3, v3, v5, vcc
	v_xor_b32_e32 v3, s28, v3
	v_subrev_u32_e32 v5, s28, v3
	s_load_dwordx2 s[40:41], s[4:5], 0x30
	s_load_dwordx4 s[28:31], s[4:5], 0x4c
	s_waitcnt lgkmcnt(0)
	s_mul_i32 s38, s25, s33
	s_ashr_i32 s39, s38, 31
	s_sub_i32 s27, s3, s0
	s_lshl_b64 s[4:5], s[38:39], 2
	s_add_u32 s25, s36, s4
	s_mul_i32 s4, s29, s42
	s_addc_u32 s31, s37, s5
	s_ashr_i32 s5, s4, 31
	s_lshl_b64 s[4:5], s[4:5], 2
	s_add_u32 s29, s40, s4
	s_addc_u32 s47, s41, s5
	s_abs_i32 s0, s23
	v_cvt_f32_u32_e32 v3, s0
	s_mul_i32 s3, s10, s9
	s_sub_i32 s48, s3, s2
	s_mul_i32 s2, s16, s8
	v_rcp_iflag_f32_e32 v3, v3
	v_mul_lo_u32 v4, v5, s21
	s_sub_i32 s49, s2, s1
	s_sub_i32 s2, 0, s0
	v_mul_f32_e32 v3, 0x4f7ffffe, v3
	v_cvt_u32_f32_e32 v3, v3
	v_sub_u32_e32 v6, v1, v4
	s_ashr_i32 s1, s23, 31
	s_mov_b64 s[8:9], 0
	v_mul_lo_u32 v4, s2, v3
	v_mul_hi_u32 v4, v3, v4
	v_add_u32_e32 v3, v3, v4
	v_mul_hi_u32 v3, v2, v3
	v_mul_lo_u32 v4, v3, s0
	v_sub_u32_e32 v4, v2, v4
	v_add_u32_e32 v8, 1, v3
	v_cmp_le_u32_e32 vcc, s0, v4
	v_cndmask_b32_e32 v3, v3, v8, vcc
	v_subrev_u32_e32 v8, s0, v4
	v_cndmask_b32_e32 v4, v4, v8, vcc
	v_add_u32_e32 v8, 1, v3
	v_cmp_le_u32_e32 vcc, s0, v4
	v_cndmask_b32_e32 v3, v3, v8, vcc
	v_xor_b32_e32 v3, s1, v3
	v_subrev_u32_e32 v9, s1, v3
	v_mul_lo_u32 v3, v9, s23
	v_cmp_gt_i32_e64 s[0:1], s22, v9
	v_sub_u32_e32 v10, v2, v3
	v_mov_b32_e32 v8, 0
	s_branch .LBB35_6
.LBB35_3:                               ;   in Loop: Header=BB35_6 Depth=1
	s_or_b64 exec, exec, s[40:41]
.LBB35_4:                               ;   in Loop: Header=BB35_6 Depth=1
	s_or_b64 exec, exec, s[38:39]
.LBB35_5:                               ;   in Loop: Header=BB35_6 Depth=1
	s_or_b64 exec, exec, s[36:37]
	v_add_u32_e32 v1, s46, v1
	v_cmp_le_i32_e32 vcc, s45, v1
	s_or_b64 s[8:9], vcc, s[8:9]
	v_add_u32_e32 v6, s46, v6
	s_andn2_b64 exec, exec, s[8:9]
	s_cbranch_execz .LBB35_22
.LBB35_6:                               ; =>This Loop Header: Depth=1
                                        ;     Child Loop BB35_8 Depth 2
                                        ;     Child Loop BB35_14 Depth 2
                                        ;       Child Loop BB35_20 Depth 3
	v_cmp_le_i32_e32 vcc, s21, v6
	s_and_saveexec_b64 s[2:3], vcc
	s_cbranch_execz .LBB35_10
; %bb.7:                                ;   in Loop: Header=BB35_6 Depth=1
	s_mov_b64 s[4:5], 0
.LBB35_8:                               ;   Parent Loop BB35_6 Depth=1
                                        ; =>  This Inner Loop Header: Depth=2
	v_subrev_u32_e32 v6, s21, v6
	v_cmp_gt_i32_e32 vcc, s21, v6
	s_or_b64 s[4:5], vcc, s[4:5]
	v_add_u32_e32 v5, 1, v5
	s_andn2_b64 exec, exec, s[4:5]
	s_cbranch_execnz .LBB35_8
; %bb.9:                                ;   in Loop: Header=BB35_6 Depth=1
	s_or_b64 exec, exec, s[4:5]
.LBB35_10:                              ;   in Loop: Header=BB35_6 Depth=1
	s_or_b64 exec, exec, s[2:3]
	v_mul_lo_u32 v2, v6, s15
	v_add_u32_e32 v2, s27, v2
	v_cmp_lt_i32_e32 vcc, -1, v2
	v_cmp_gt_i32_e64 s[2:3], s17, v2
	s_and_b64 s[2:3], vcc, s[2:3]
	s_and_saveexec_b64 s[36:37], s[2:3]
	s_cbranch_execz .LBB35_5
; %bb.11:                               ;   in Loop: Header=BB35_6 Depth=1
	s_and_saveexec_b64 s[38:39], s[0:1]
	s_cbranch_execz .LBB35_4
; %bb.12:                               ;   in Loop: Header=BB35_6 Depth=1
	v_mul_lo_u32 v12, s28, v5
	v_ashrrev_i32_e32 v13, 31, v12
	v_lshlrev_b64 v[12:13], 2, v[12:13]
	v_mov_b32_e32 v3, s47
	v_add_co_u32_e32 v4, vcc, s29, v12
	v_mul_lo_u32 v2, s30, v2
	v_addc_co_u32_e32 v13, vcc, v3, v13, vcc
	v_ashrrev_i32_e32 v3, 31, v2
	v_lshlrev_b64 v[2:3], 2, v[2:3]
	v_add_co_u32_e32 v12, vcc, v4, v2
	v_mul_lo_u32 v2, s24, v5
	v_addc_co_u32_e32 v13, vcc, v13, v3, vcc
	v_ashrrev_i32_e32 v3, 31, v2
	v_lshlrev_b64 v[2:3], 2, v[2:3]
	v_mov_b32_e32 v4, s31
	v_add_co_u32_e32 v14, vcc, s25, v2
	v_mul_lo_u32 v2, s26, v6
	v_addc_co_u32_e32 v4, vcc, v4, v3, vcc
	v_ashrrev_i32_e32 v3, 31, v2
	v_lshlrev_b64 v[2:3], 2, v[2:3]
	v_add_co_u32_e32 v2, vcc, v14, v2
	v_addc_co_u32_e32 v3, vcc, v4, v3, vcc
	v_add_co_u32_e32 v2, vcc, v2, v11
	v_addc_co_u32_e32 v3, vcc, 0, v3, vcc
	s_mov_b64 s[40:41], 0
	v_mov_b32_e32 v14, v10
	v_mov_b32_e32 v15, v9
	s_branch .LBB35_14
.LBB35_13:                              ;   in Loop: Header=BB35_14 Depth=2
	s_or_b64 exec, exec, s[2:3]
	v_add_co_u32_e32 v2, vcc, 0x100, v2
	v_addc_co_u32_e32 v3, vcc, 0, v3, vcc
	v_cmp_le_i32_e32 vcc, s22, v15
	s_or_b64 s[40:41], vcc, s[40:41]
	s_waitcnt vmcnt(0)
	v_fmac_f32_e32 v8, v16, v17
	s_andn2_b64 exec, exec, s[40:41]
	s_cbranch_execz .LBB35_3
.LBB35_14:                              ;   Parent Loop BB35_6 Depth=1
                                        ; =>  This Loop Header: Depth=2
                                        ;       Child Loop BB35_20 Depth 3
	global_load_dword v16, v[2:3], off
	v_add_u32_e32 v4, s48, v14
	v_cmp_lt_i32_e32 vcc, -1, v4
	v_mov_b32_e32 v17, 0
	s_and_saveexec_b64 s[42:43], vcc
	s_cbranch_execz .LBB35_18
; %bb.15:                               ;   in Loop: Header=BB35_14 Depth=2
	v_add_u32_e32 v18, s49, v15
	v_cmp_gt_i32_e32 vcc, s19, v4
	v_cmp_gt_i32_e64 s[4:5], s18, v18
	v_cmp_lt_i32_e64 s[2:3], -1, v18
	s_and_b64 s[4:5], vcc, s[4:5]
	s_and_b64 s[4:5], s[4:5], s[2:3]
	v_mov_b32_e32 v17, 0
	s_and_saveexec_b64 s[2:3], s[4:5]
	s_cbranch_execz .LBB35_17
; %bb.16:                               ;   in Loop: Header=BB35_14 Depth=2
	v_mad_u64_u32 v[18:19], s[4:5], v18, s19, v[4:5]
	v_mov_b32_e32 v19, v7
	v_lshlrev_b64 v[18:19], 2, v[18:19]
	v_add_co_u32_e32 v18, vcc, v12, v18
	v_addc_co_u32_e32 v19, vcc, v13, v19, vcc
	global_load_dword v17, v[18:19], off
.LBB35_17:                              ;   in Loop: Header=BB35_14 Depth=2
	s_or_b64 exec, exec, s[2:3]
.LBB35_18:                              ;   in Loop: Header=BB35_14 Depth=2
	s_or_b64 exec, exec, s[42:43]
	v_add_u32_e32 v14, 64, v14
	v_cmp_le_i32_e32 vcc, s23, v14
	s_and_saveexec_b64 s[2:3], vcc
	s_cbranch_execz .LBB35_13
; %bb.19:                               ;   in Loop: Header=BB35_14 Depth=2
	s_mov_b64 s[4:5], 0
.LBB35_20:                              ;   Parent Loop BB35_6 Depth=1
                                        ;     Parent Loop BB35_14 Depth=2
                                        ; =>    This Inner Loop Header: Depth=3
	v_subrev_u32_e32 v14, s23, v14
	v_cmp_gt_i32_e32 vcc, s23, v14
	s_or_b64 s[4:5], vcc, s[4:5]
	v_add_u32_e32 v15, 1, v15
	s_andn2_b64 exec, exec, s[4:5]
	s_cbranch_execnz .LBB35_20
; %bb.21:                               ;   in Loop: Header=BB35_14 Depth=2
	s_or_b64 exec, exec, s[4:5]
	s_branch .LBB35_13
.LBB35_22:
	s_or_b64 exec, exec, s[8:9]
.LBB35_23:
	s_or_b64 exec, exec, s[6:7]
	s_bcnt1_i32_b32 s0, s44
	v_lshl_add_u32 v1, v0, 2, 0
	s_cmp_lg_u32 s0, 1
	s_mov_b64 s[0:1], -1
	ds_write_b32 v1, v8
	s_waitcnt lgkmcnt(0)
	s_barrier
	s_cbranch_scc1 .LBB35_32
; %bb.24:
	s_andn2_b64 vcc, exec, s[0:1]
	s_cbranch_vccnz .LBB35_28
.LBB35_25:
	s_cmp_lt_u32 s44, 2
	s_cbranch_scc0 .LBB35_30
.LBB35_26:
	v_cmp_eq_u32_e32 vcc, 0, v0
	s_and_saveexec_b64 s[0:1], vcc
	s_cbranch_execz .LBB35_28
; %bb.27:
	s_mul_i32 s0, s11, s33
	s_ashr_i32 s1, s0, 31
	s_lshl_b64 s[0:1], s[0:1], 2
	s_add_u32 s2, s34, s0
	s_mul_i32 s0, s12, s20
	s_addc_u32 s3, s35, s1
	s_ashr_i32 s1, s0, 31
	s_lshl_b64 s[0:1], s[0:1], 2
	s_add_u32 s2, s2, s0
	s_mul_i32 s0, s13, s16
	s_addc_u32 s3, s3, s1
	s_ashr_i32 s1, s0, 31
	s_lshl_b64 s[0:1], s[0:1], 2
	v_mov_b32_e32 v0, 0
	s_add_u32 s2, s2, s0
	s_mul_i32 s0, s14, s10
	ds_read_b32 v1, v0
	s_addc_u32 s3, s3, s1
	s_ashr_i32 s1, s0, 31
	s_lshl_b64 s[0:1], s[0:1], 2
	s_add_u32 s0, s2, s0
	s_addc_u32 s1, s3, s1
	s_waitcnt lgkmcnt(0)
	global_store_dword v0, v1, s[0:1]
.LBB35_28:
	s_endpgm
.LBB35_29:                              ;   in Loop: Header=BB35_30 Depth=1
	s_or_b64 exec, exec, s[0:1]
	s_cmp_lt_u32 s44, 4
	s_mov_b32 s44, s2
	s_waitcnt lgkmcnt(0)
	s_barrier
	s_cbranch_scc1 .LBB35_26
.LBB35_30:                              ; =>This Inner Loop Header: Depth=1
	s_lshr_b32 s2, s44, 1
	v_cmp_gt_u32_e32 vcc, s2, v0
	s_and_saveexec_b64 s[0:1], vcc
	s_cbranch_execz .LBB35_29
; %bb.31:                               ;   in Loop: Header=BB35_30 Depth=1
	v_lshl_add_u32 v2, s2, 2, v1
	ds_read_b32 v2, v2
	ds_read_b32 v3, v1
	s_waitcnt lgkmcnt(0)
	v_add_f32_e32 v2, v2, v3
	ds_write_b32 v1, v2
	s_branch .LBB35_29
.LBB35_32:
	s_trap 2
	; divergent unreachable
	s_cbranch_execz .LBB35_25
	s_branch .LBB35_28
	.section	.rodata,"a",@progbits
	.p2align	6, 0x0
	.amdhsa_kernel _ZN2at6native12_GLOBAL__N_144conv_depthwise3d_cuda_backward_weight_kernelIffLi1ELi1EEEvN5torch10headeronly6detail27GenericPackedTensorAccessorINS5_14TensorAccessorIN3c108ArrayRefIlEEKT_Lm4ENS4_16DefaultPtrTraitsEiEENS_6detail16IndexBoundsCheckILm5EiEESC_Lm5ESD_iEESI_NS6_INS7_ISA_SB_Lm4ESD_iEESH_SB_Lm5ESD_iEEiiiiiiiii
		.amdhsa_group_segment_fixed_size 0
		.amdhsa_private_segment_fixed_size 0
		.amdhsa_kernarg_size 440
		.amdhsa_user_sgpr_count 6
		.amdhsa_user_sgpr_private_segment_buffer 1
		.amdhsa_user_sgpr_dispatch_ptr 0
		.amdhsa_user_sgpr_queue_ptr 0
		.amdhsa_user_sgpr_kernarg_segment_ptr 1
		.amdhsa_user_sgpr_dispatch_id 0
		.amdhsa_user_sgpr_flat_scratch_init 0
		.amdhsa_user_sgpr_kernarg_preload_length 0
		.amdhsa_user_sgpr_kernarg_preload_offset 0
		.amdhsa_user_sgpr_private_segment_size 0
		.amdhsa_uses_dynamic_stack 0
		.amdhsa_system_sgpr_private_segment_wavefront_offset 0
		.amdhsa_system_sgpr_workgroup_id_x 1
		.amdhsa_system_sgpr_workgroup_id_y 0
		.amdhsa_system_sgpr_workgroup_id_z 0
		.amdhsa_system_sgpr_workgroup_info 0
		.amdhsa_system_vgpr_workitem_id 0
		.amdhsa_next_free_vgpr 20
		.amdhsa_next_free_sgpr 50
		.amdhsa_accum_offset 20
		.amdhsa_reserve_vcc 1
		.amdhsa_reserve_flat_scratch 0
		.amdhsa_float_round_mode_32 0
		.amdhsa_float_round_mode_16_64 0
		.amdhsa_float_denorm_mode_32 3
		.amdhsa_float_denorm_mode_16_64 3
		.amdhsa_dx10_clamp 1
		.amdhsa_ieee_mode 1
		.amdhsa_fp16_overflow 0
		.amdhsa_tg_split 0
		.amdhsa_exception_fp_ieee_invalid_op 0
		.amdhsa_exception_fp_denorm_src 0
		.amdhsa_exception_fp_ieee_div_zero 0
		.amdhsa_exception_fp_ieee_overflow 0
		.amdhsa_exception_fp_ieee_underflow 0
		.amdhsa_exception_fp_ieee_inexact 0
		.amdhsa_exception_int_div_zero 0
	.end_amdhsa_kernel
	.section	.text._ZN2at6native12_GLOBAL__N_144conv_depthwise3d_cuda_backward_weight_kernelIffLi1ELi1EEEvN5torch10headeronly6detail27GenericPackedTensorAccessorINS5_14TensorAccessorIN3c108ArrayRefIlEEKT_Lm4ENS4_16DefaultPtrTraitsEiEENS_6detail16IndexBoundsCheckILm5EiEESC_Lm5ESD_iEESI_NS6_INS7_ISA_SB_Lm4ESD_iEESH_SB_Lm5ESD_iEEiiiiiiiii,"axG",@progbits,_ZN2at6native12_GLOBAL__N_144conv_depthwise3d_cuda_backward_weight_kernelIffLi1ELi1EEEvN5torch10headeronly6detail27GenericPackedTensorAccessorINS5_14TensorAccessorIN3c108ArrayRefIlEEKT_Lm4ENS4_16DefaultPtrTraitsEiEENS_6detail16IndexBoundsCheckILm5EiEESC_Lm5ESD_iEESI_NS6_INS7_ISA_SB_Lm4ESD_iEESH_SB_Lm5ESD_iEEiiiiiiiii,comdat
.Lfunc_end35:
	.size	_ZN2at6native12_GLOBAL__N_144conv_depthwise3d_cuda_backward_weight_kernelIffLi1ELi1EEEvN5torch10headeronly6detail27GenericPackedTensorAccessorINS5_14TensorAccessorIN3c108ArrayRefIlEEKT_Lm4ENS4_16DefaultPtrTraitsEiEENS_6detail16IndexBoundsCheckILm5EiEESC_Lm5ESD_iEESI_NS6_INS7_ISA_SB_Lm4ESD_iEESH_SB_Lm5ESD_iEEiiiiiiiii, .Lfunc_end35-_ZN2at6native12_GLOBAL__N_144conv_depthwise3d_cuda_backward_weight_kernelIffLi1ELi1EEEvN5torch10headeronly6detail27GenericPackedTensorAccessorINS5_14TensorAccessorIN3c108ArrayRefIlEEKT_Lm4ENS4_16DefaultPtrTraitsEiEENS_6detail16IndexBoundsCheckILm5EiEESC_Lm5ESD_iEESI_NS6_INS7_ISA_SB_Lm4ESD_iEESH_SB_Lm5ESD_iEEiiiiiiiii
                                        ; -- End function
	.section	.AMDGPU.csdata,"",@progbits
; Kernel info:
; codeLenInByte = 1788
; NumSgprs: 54
; NumVgprs: 20
; NumAgprs: 0
; TotalNumVgprs: 20
; ScratchSize: 0
; MemoryBound: 0
; FloatMode: 240
; IeeeMode: 1
; LDSByteSize: 0 bytes/workgroup (compile time only)
; SGPRBlocks: 6
; VGPRBlocks: 2
; NumSGPRsForWavesPerEU: 54
; NumVGPRsForWavesPerEU: 20
; AccumOffset: 20
; Occupancy: 8
; WaveLimiterHint : 1
; COMPUTE_PGM_RSRC2:SCRATCH_EN: 0
; COMPUTE_PGM_RSRC2:USER_SGPR: 6
; COMPUTE_PGM_RSRC2:TRAP_HANDLER: 0
; COMPUTE_PGM_RSRC2:TGID_X_EN: 1
; COMPUTE_PGM_RSRC2:TGID_Y_EN: 0
; COMPUTE_PGM_RSRC2:TGID_Z_EN: 0
; COMPUTE_PGM_RSRC2:TIDIG_COMP_CNT: 0
; COMPUTE_PGM_RSRC3_GFX90A:ACCUM_OFFSET: 4
; COMPUTE_PGM_RSRC3_GFX90A:TG_SPLIT: 0
	.section	.text._ZN2at6native12_GLOBAL__N_144conv_depthwise3d_cuda_backward_weight_kernelIffLi2ELi2EEEvN5torch10headeronly6detail27GenericPackedTensorAccessorINS5_14TensorAccessorIN3c108ArrayRefIlEEKT_Lm4ENS4_16DefaultPtrTraitsEiEENS_6detail16IndexBoundsCheckILm5EiEESC_Lm5ESD_iEESI_NS6_INS7_ISA_SB_Lm4ESD_iEESH_SB_Lm5ESD_iEEiiiiiiiii,"axG",@progbits,_ZN2at6native12_GLOBAL__N_144conv_depthwise3d_cuda_backward_weight_kernelIffLi2ELi2EEEvN5torch10headeronly6detail27GenericPackedTensorAccessorINS5_14TensorAccessorIN3c108ArrayRefIlEEKT_Lm4ENS4_16DefaultPtrTraitsEiEENS_6detail16IndexBoundsCheckILm5EiEESC_Lm5ESD_iEESI_NS6_INS7_ISA_SB_Lm4ESD_iEESH_SB_Lm5ESD_iEEiiiiiiiii,comdat
	.globl	_ZN2at6native12_GLOBAL__N_144conv_depthwise3d_cuda_backward_weight_kernelIffLi2ELi2EEEvN5torch10headeronly6detail27GenericPackedTensorAccessorINS5_14TensorAccessorIN3c108ArrayRefIlEEKT_Lm4ENS4_16DefaultPtrTraitsEiEENS_6detail16IndexBoundsCheckILm5EiEESC_Lm5ESD_iEESI_NS6_INS7_ISA_SB_Lm4ESD_iEESH_SB_Lm5ESD_iEEiiiiiiiii ; -- Begin function _ZN2at6native12_GLOBAL__N_144conv_depthwise3d_cuda_backward_weight_kernelIffLi2ELi2EEEvN5torch10headeronly6detail27GenericPackedTensorAccessorINS5_14TensorAccessorIN3c108ArrayRefIlEEKT_Lm4ENS4_16DefaultPtrTraitsEiEENS_6detail16IndexBoundsCheckILm5EiEESC_Lm5ESD_iEESI_NS6_INS7_ISA_SB_Lm4ESD_iEESH_SB_Lm5ESD_iEEiiiiiiiii
	.p2align	8
	.type	_ZN2at6native12_GLOBAL__N_144conv_depthwise3d_cuda_backward_weight_kernelIffLi2ELi2EEEvN5torch10headeronly6detail27GenericPackedTensorAccessorINS5_14TensorAccessorIN3c108ArrayRefIlEEKT_Lm4ENS4_16DefaultPtrTraitsEiEENS_6detail16IndexBoundsCheckILm5EiEESC_Lm5ESD_iEESI_NS6_INS7_ISA_SB_Lm4ESD_iEESH_SB_Lm5ESD_iEEiiiiiiiii,@function
_ZN2at6native12_GLOBAL__N_144conv_depthwise3d_cuda_backward_weight_kernelIffLi2ELi2EEEvN5torch10headeronly6detail27GenericPackedTensorAccessorINS5_14TensorAccessorIN3c108ArrayRefIlEEKT_Lm4ENS4_16DefaultPtrTraitsEiEENS_6detail16IndexBoundsCheckILm5EiEESC_Lm5ESD_iEESI_NS6_INS7_ISA_SB_Lm4ESD_iEESH_SB_Lm5ESD_iEEiiiiiiiii: ; @_ZN2at6native12_GLOBAL__N_144conv_depthwise3d_cuda_backward_weight_kernelIffLi2ELi2EEEvN5torch10headeronly6detail27GenericPackedTensorAccessorINS5_14TensorAccessorIN3c108ArrayRefIlEEKT_Lm4ENS4_16DefaultPtrTraitsEiEENS_6detail16IndexBoundsCheckILm5EiEESC_Lm5ESD_iEESI_NS6_INS7_ISA_SB_Lm4ESD_iEESH_SB_Lm5ESD_iEEiiiiiiiii
; %bb.0:
	s_load_dwordx4 s[8:11], s[4:5], 0x70
	s_add_u32 s0, s4, 0x60
	s_addc_u32 s1, s5, 0
	s_load_dwordx4 s[16:19], s[4:5], 0x3c
	s_load_dwordx4 s[20:23], s[4:5], 0xc
	s_waitcnt lgkmcnt(0)
	v_cvt_f32_u32_e32 v1, s10
	v_cvt_f32_u32_e32 v2, s9
	s_sub_i32 s2, 0, s10
	v_rcp_iflag_f32_e32 v1, v1
	v_rcp_iflag_f32_e32 v2, v2
	v_mul_f32_e32 v1, 0x4f7ffffe, v1
	v_cvt_u32_f32_e32 v1, v1
	v_mul_f32_e32 v2, 0x4f7ffffe, v2
	v_cvt_u32_f32_e32 v2, v2
	v_readfirstlane_b32 s3, v1
	s_mul_i32 s2, s2, s3
	s_mul_hi_u32 s2, s3, s2
	s_add_i32 s3, s3, s2
	s_mul_hi_u32 s2, s6, s3
	s_mul_i32 s3, s2, s10
	s_sub_i32 s3, s6, s3
	s_add_i32 s12, s2, 1
	s_sub_i32 s13, s3, s10
	s_cmp_ge_u32 s3, s10
	s_cselect_b32 s2, s12, s2
	s_cselect_b32 s3, s13, s3
	s_add_i32 s12, s2, 1
	s_cmp_ge_u32 s3, s10
	v_cvt_f32_u32_e32 v1, s8
	v_readfirstlane_b32 s7, v2
	s_cselect_b32 s2, s12, s2
	s_sub_i32 s3, 0, s9
	s_mul_i32 s3, s3, s7
	s_mul_hi_u32 s3, s7, s3
	s_add_i32 s7, s7, s3
	v_rcp_iflag_f32_e32 v1, v1
	s_mul_hi_u32 s3, s2, s7
	s_mul_i32 s7, s3, s9
	s_sub_i32 s7, s2, s7
	s_add_i32 s12, s3, 1
	s_sub_i32 s13, s7, s9
	v_mul_f32_e32 v1, 0x4f7ffffe, v1
	s_cmp_ge_u32 s7, s9
	v_cvt_u32_f32_e32 v1, v1
	s_cselect_b32 s3, s12, s3
	s_cselect_b32 s7, s13, s7
	s_add_i32 s12, s3, 1
	s_cmp_ge_u32 s7, s9
	s_cselect_b32 s3, s12, s3
	s_sub_i32 s7, 0, s8
	v_readfirstlane_b32 s12, v1
	s_mul_i32 s7, s7, s12
	s_mul_hi_u32 s7, s12, s7
	s_add_i32 s12, s12, s7
	s_mul_hi_u32 s7, s3, s12
	s_mul_i32 s12, s7, s8
	s_sub_i32 s12, s3, s12
	s_add_i32 s13, s7, 1
	s_sub_i32 s14, s12, s8
	s_cmp_ge_u32 s12, s8
	s_cselect_b32 s7, s13, s7
	s_cselect_b32 s12, s14, s12
	s_add_i32 s13, s7, 1
	s_cmp_ge_u32 s12, s8
	s_cselect_b32 s33, s13, s7
	s_abs_i32 s7, s16
	v_cvt_f32_u32_e32 v1, s7
	s_sub_i32 s14, 0, s7
	s_abs_i32 s13, s20
	s_xor_b32 s12, s20, s16
	v_rcp_iflag_f32_e32 v1, v1
	s_ashr_i32 s12, s12, 31
	v_mul_f32_e32 v1, 0x4f7ffffe, v1
	v_cvt_u32_f32_e32 v1, v1
	v_readfirstlane_b32 s15, v1
	s_mul_i32 s14, s14, s15
	s_mul_hi_u32 s14, s15, s14
	s_add_i32 s15, s15, s14
	s_mul_hi_u32 s14, s13, s15
	s_mul_i32 s15, s14, s7
	s_sub_i32 s13, s13, s15
	s_add_i32 s15, s14, 1
	s_sub_i32 s16, s13, s7
	s_cmp_ge_u32 s13, s7
	s_cselect_b32 s14, s15, s14
	s_cselect_b32 s13, s16, s13
	s_add_i32 s15, s14, 1
	s_cmp_ge_u32 s13, s7
	s_cselect_b32 s7, s15, s14
	s_xor_b32 s7, s7, s12
	s_sub_i32 s25, s7, s12
	s_abs_i32 s24, s25
	v_cvt_f32_u32_e32 v1, s24
	s_load_dword s7, s[4:5], 0x68
	v_rcp_iflag_f32_e32 v1, v1
	s_waitcnt lgkmcnt(0)
	s_cmp_ge_i32 s33, s7
	v_mul_f32_e32 v1, 0x4f7ffffe, v1
	v_cvt_u32_f32_e32 v1, v1
	v_readfirstlane_b32 s26, v1
	s_cbranch_scc1 .LBB36_28
; %bb.1:
	s_load_dwordx2 s[34:35], s[0:1], 0x0
	s_load_dwordx4 s[12:15], s[0:1], 0x24
	s_mul_i32 s0, s2, s10
	s_sub_i32 s10, s6, s0
	s_mul_i32 s0, s3, s9
	s_sub_i32 s16, s2, s0
	s_load_dword s0, s[4:5], 0xc4
	s_load_dword s45, s[4:5], 0x38
	s_mul_i32 s1, s33, s8
	v_lshrrev_b32_e32 v1, 6, v0
	s_sub_i32 s20, s3, s1
	s_waitcnt lgkmcnt(0)
	s_and_b32 s44, s0, 0xffff
	s_mul_i32 s45, s45, s21
	v_cmp_gt_i32_e32 vcc, s45, v1
	v_mov_b32_e32 v8, 0
	s_and_saveexec_b64 s[6:7], vcc
	s_cbranch_execz .LBB36_23
; %bb.2:
	s_sub_i32 s3, 0, s24
	s_mul_i32 s3, s3, s26
	s_mul_hi_u32 s3, s26, s3
	s_abs_i32 s2, s33
	s_add_i32 s26, s26, s3
	s_ashr_i32 s0, s33, 31
	s_ashr_i32 s1, s25, 31
	s_mul_hi_u32 s3, s2, s26
	s_xor_b32 s25, s0, s1
	s_mul_i32 s0, s3, s24
	s_sub_i32 s0, s2, s0
	s_lshr_b32 s46, s44, 6
	s_add_i32 s1, s3, 1
	s_sub_i32 s2, s0, s24
	s_cmp_ge_u32 s0, s24
	s_cselect_b32 s1, s1, s3
	s_cselect_b32 s0, s2, s0
	s_add_i32 s2, s1, 1
	s_cmp_ge_u32 s0, s24
	s_cselect_b32 s24, s2, s1
	s_abs_i32 s26, s21
	v_cvt_f32_u32_e32 v3, s26
	s_xor_b32 s24, s24, s25
	s_sub_i32 s42, s24, s25
	s_sub_i32 s24, 0, s26
	v_rcp_iflag_f32_e32 v3, v3
	s_load_dwordx4 s[0:3], s[4:5], 0x9c
	s_load_dwordx2 s[8:9], s[4:5], 0xac
	s_ashr_i32 s28, s21, 31
	v_and_b32_e32 v2, 63, v0
	v_mul_f32_e32 v3, 0x4f7ffffe, v3
	v_cvt_u32_f32_e32 v3, v3
	s_waitcnt lgkmcnt(0)
	s_mul_i32 s3, s20, s3
	v_mov_b32_e32 v7, 0
	v_lshlrev_b32_e32 v11, 2, v2
	v_mul_lo_u32 v4, s24, v3
	v_mul_hi_u32 v4, v3, v4
	v_add_u32_e32 v3, v3, v4
	v_mul_hi_u32 v3, v1, v3
	v_mul_lo_u32 v4, v3, s26
	v_sub_u32_e32 v4, v1, v4
	v_add_u32_e32 v5, 1, v3
	v_cmp_le_u32_e32 vcc, s26, v4
	v_cndmask_b32_e32 v3, v3, v5, vcc
	v_subrev_u32_e32 v5, s26, v4
	v_cndmask_b32_e32 v4, v4, v5, vcc
	v_add_u32_e32 v5, 1, v3
	v_cmp_le_u32_e32 vcc, s26, v4
	s_load_dwordx2 s[36:37], s[4:5], 0x0
	s_load_dwordx4 s[24:27], s[4:5], 0x1c
	v_cndmask_b32_e32 v3, v3, v5, vcc
	v_xor_b32_e32 v3, s28, v3
	v_subrev_u32_e32 v5, s28, v3
	s_load_dwordx2 s[40:41], s[4:5], 0x30
	s_load_dwordx4 s[28:31], s[4:5], 0x4c
	s_waitcnt lgkmcnt(0)
	s_mul_i32 s38, s25, s33
	s_ashr_i32 s39, s38, 31
	s_sub_i32 s27, s3, s0
	s_lshl_b64 s[4:5], s[38:39], 2
	s_add_u32 s25, s36, s4
	s_mul_i32 s4, s29, s42
	s_addc_u32 s31, s37, s5
	s_ashr_i32 s5, s4, 31
	s_lshl_b64 s[4:5], s[4:5], 2
	s_add_u32 s29, s40, s4
	s_addc_u32 s47, s41, s5
	s_abs_i32 s0, s23
	v_cvt_f32_u32_e32 v3, s0
	s_mul_i32 s3, s10, s9
	s_sub_i32 s48, s3, s2
	s_mul_i32 s2, s16, s8
	v_rcp_iflag_f32_e32 v3, v3
	v_mul_lo_u32 v4, v5, s21
	s_sub_i32 s49, s2, s1
	s_sub_i32 s2, 0, s0
	v_mul_f32_e32 v3, 0x4f7ffffe, v3
	v_cvt_u32_f32_e32 v3, v3
	v_sub_u32_e32 v6, v1, v4
	s_ashr_i32 s1, s23, 31
	s_mov_b64 s[8:9], 0
	v_mul_lo_u32 v4, s2, v3
	v_mul_hi_u32 v4, v3, v4
	v_add_u32_e32 v3, v3, v4
	v_mul_hi_u32 v3, v2, v3
	v_mul_lo_u32 v4, v3, s0
	v_sub_u32_e32 v4, v2, v4
	v_add_u32_e32 v8, 1, v3
	v_cmp_le_u32_e32 vcc, s0, v4
	v_cndmask_b32_e32 v3, v3, v8, vcc
	v_subrev_u32_e32 v8, s0, v4
	v_cndmask_b32_e32 v4, v4, v8, vcc
	v_add_u32_e32 v8, 1, v3
	v_cmp_le_u32_e32 vcc, s0, v4
	v_cndmask_b32_e32 v3, v3, v8, vcc
	v_xor_b32_e32 v3, s1, v3
	v_subrev_u32_e32 v9, s1, v3
	v_mul_lo_u32 v3, v9, s23
	v_cmp_gt_i32_e64 s[0:1], s22, v9
	v_sub_u32_e32 v10, v2, v3
	v_mov_b32_e32 v8, 0
	s_branch .LBB36_6
.LBB36_3:                               ;   in Loop: Header=BB36_6 Depth=1
	s_or_b64 exec, exec, s[40:41]
.LBB36_4:                               ;   in Loop: Header=BB36_6 Depth=1
	s_or_b64 exec, exec, s[38:39]
.LBB36_5:                               ;   in Loop: Header=BB36_6 Depth=1
	s_or_b64 exec, exec, s[36:37]
	v_add_u32_e32 v1, s46, v1
	v_cmp_le_i32_e32 vcc, s45, v1
	s_or_b64 s[8:9], vcc, s[8:9]
	v_add_u32_e32 v6, s46, v6
	s_andn2_b64 exec, exec, s[8:9]
	s_cbranch_execz .LBB36_22
.LBB36_6:                               ; =>This Loop Header: Depth=1
                                        ;     Child Loop BB36_8 Depth 2
                                        ;     Child Loop BB36_14 Depth 2
                                        ;       Child Loop BB36_20 Depth 3
	v_cmp_le_i32_e32 vcc, s21, v6
	s_and_saveexec_b64 s[2:3], vcc
	s_cbranch_execz .LBB36_10
; %bb.7:                                ;   in Loop: Header=BB36_6 Depth=1
	s_mov_b64 s[4:5], 0
.LBB36_8:                               ;   Parent Loop BB36_6 Depth=1
                                        ; =>  This Inner Loop Header: Depth=2
	v_subrev_u32_e32 v6, s21, v6
	v_cmp_gt_i32_e32 vcc, s21, v6
	s_or_b64 s[4:5], vcc, s[4:5]
	v_add_u32_e32 v5, 1, v5
	s_andn2_b64 exec, exec, s[4:5]
	s_cbranch_execnz .LBB36_8
; %bb.9:                                ;   in Loop: Header=BB36_6 Depth=1
	s_or_b64 exec, exec, s[4:5]
.LBB36_10:                              ;   in Loop: Header=BB36_6 Depth=1
	s_or_b64 exec, exec, s[2:3]
	v_mul_lo_u32 v2, v6, s15
	v_add_u32_e32 v2, s27, v2
	v_cmp_lt_i32_e32 vcc, -1, v2
	v_cmp_gt_i32_e64 s[2:3], s17, v2
	s_and_b64 s[2:3], vcc, s[2:3]
	s_and_saveexec_b64 s[36:37], s[2:3]
	s_cbranch_execz .LBB36_5
; %bb.11:                               ;   in Loop: Header=BB36_6 Depth=1
	s_and_saveexec_b64 s[38:39], s[0:1]
	s_cbranch_execz .LBB36_4
; %bb.12:                               ;   in Loop: Header=BB36_6 Depth=1
	v_mul_lo_u32 v12, s28, v5
	v_ashrrev_i32_e32 v13, 31, v12
	v_lshlrev_b64 v[12:13], 2, v[12:13]
	v_mov_b32_e32 v3, s47
	v_add_co_u32_e32 v4, vcc, s29, v12
	v_mul_lo_u32 v2, s30, v2
	v_addc_co_u32_e32 v13, vcc, v3, v13, vcc
	v_ashrrev_i32_e32 v3, 31, v2
	v_lshlrev_b64 v[2:3], 2, v[2:3]
	v_add_co_u32_e32 v12, vcc, v4, v2
	v_mul_lo_u32 v2, s24, v5
	v_addc_co_u32_e32 v13, vcc, v13, v3, vcc
	v_ashrrev_i32_e32 v3, 31, v2
	v_lshlrev_b64 v[2:3], 2, v[2:3]
	v_mov_b32_e32 v4, s31
	v_add_co_u32_e32 v14, vcc, s25, v2
	v_mul_lo_u32 v2, s26, v6
	v_addc_co_u32_e32 v4, vcc, v4, v3, vcc
	v_ashrrev_i32_e32 v3, 31, v2
	v_lshlrev_b64 v[2:3], 2, v[2:3]
	v_add_co_u32_e32 v2, vcc, v14, v2
	v_addc_co_u32_e32 v3, vcc, v4, v3, vcc
	v_add_co_u32_e32 v2, vcc, v2, v11
	v_addc_co_u32_e32 v3, vcc, 0, v3, vcc
	s_mov_b64 s[40:41], 0
	v_mov_b32_e32 v14, v10
	v_mov_b32_e32 v15, v9
	s_branch .LBB36_14
.LBB36_13:                              ;   in Loop: Header=BB36_14 Depth=2
	s_or_b64 exec, exec, s[2:3]
	v_add_co_u32_e32 v2, vcc, 0x100, v2
	v_addc_co_u32_e32 v3, vcc, 0, v3, vcc
	v_cmp_le_i32_e32 vcc, s22, v15
	s_or_b64 s[40:41], vcc, s[40:41]
	s_waitcnt vmcnt(0)
	v_fmac_f32_e32 v8, v16, v17
	s_andn2_b64 exec, exec, s[40:41]
	s_cbranch_execz .LBB36_3
.LBB36_14:                              ;   Parent Loop BB36_6 Depth=1
                                        ; =>  This Loop Header: Depth=2
                                        ;       Child Loop BB36_20 Depth 3
	global_load_dword v16, v[2:3], off
	v_lshl_add_u32 v4, v14, 1, s48
	v_cmp_lt_i32_e32 vcc, -1, v4
	v_mov_b32_e32 v17, 0
	s_and_saveexec_b64 s[42:43], vcc
	s_cbranch_execz .LBB36_18
; %bb.15:                               ;   in Loop: Header=BB36_14 Depth=2
	v_lshl_add_u32 v18, v15, 1, s49
	v_cmp_gt_i32_e32 vcc, s19, v4
	v_cmp_gt_i32_e64 s[4:5], s18, v18
	v_cmp_lt_i32_e64 s[2:3], -1, v18
	s_and_b64 s[4:5], vcc, s[4:5]
	s_and_b64 s[4:5], s[4:5], s[2:3]
	v_mov_b32_e32 v17, 0
	s_and_saveexec_b64 s[2:3], s[4:5]
	s_cbranch_execz .LBB36_17
; %bb.16:                               ;   in Loop: Header=BB36_14 Depth=2
	v_mad_u64_u32 v[18:19], s[4:5], v18, s19, v[4:5]
	v_mov_b32_e32 v19, v7
	v_lshlrev_b64 v[18:19], 2, v[18:19]
	v_add_co_u32_e32 v18, vcc, v12, v18
	v_addc_co_u32_e32 v19, vcc, v13, v19, vcc
	global_load_dword v17, v[18:19], off
.LBB36_17:                              ;   in Loop: Header=BB36_14 Depth=2
	s_or_b64 exec, exec, s[2:3]
.LBB36_18:                              ;   in Loop: Header=BB36_14 Depth=2
	s_or_b64 exec, exec, s[42:43]
	v_add_u32_e32 v14, 64, v14
	v_cmp_le_i32_e32 vcc, s23, v14
	s_and_saveexec_b64 s[2:3], vcc
	s_cbranch_execz .LBB36_13
; %bb.19:                               ;   in Loop: Header=BB36_14 Depth=2
	s_mov_b64 s[4:5], 0
.LBB36_20:                              ;   Parent Loop BB36_6 Depth=1
                                        ;     Parent Loop BB36_14 Depth=2
                                        ; =>    This Inner Loop Header: Depth=3
	v_subrev_u32_e32 v14, s23, v14
	v_cmp_gt_i32_e32 vcc, s23, v14
	s_or_b64 s[4:5], vcc, s[4:5]
	v_add_u32_e32 v15, 1, v15
	s_andn2_b64 exec, exec, s[4:5]
	s_cbranch_execnz .LBB36_20
; %bb.21:                               ;   in Loop: Header=BB36_14 Depth=2
	s_or_b64 exec, exec, s[4:5]
	s_branch .LBB36_13
.LBB36_22:
	s_or_b64 exec, exec, s[8:9]
.LBB36_23:
	s_or_b64 exec, exec, s[6:7]
	s_bcnt1_i32_b32 s0, s44
	v_lshl_add_u32 v1, v0, 2, 0
	s_cmp_lg_u32 s0, 1
	s_mov_b64 s[0:1], -1
	ds_write_b32 v1, v8
	s_waitcnt lgkmcnt(0)
	s_barrier
	s_cbranch_scc1 .LBB36_32
; %bb.24:
	s_andn2_b64 vcc, exec, s[0:1]
	s_cbranch_vccnz .LBB36_28
.LBB36_25:
	s_cmp_lt_u32 s44, 2
	s_cbranch_scc0 .LBB36_30
.LBB36_26:
	v_cmp_eq_u32_e32 vcc, 0, v0
	s_and_saveexec_b64 s[0:1], vcc
	s_cbranch_execz .LBB36_28
; %bb.27:
	s_mul_i32 s0, s11, s33
	s_ashr_i32 s1, s0, 31
	s_lshl_b64 s[0:1], s[0:1], 2
	s_add_u32 s2, s34, s0
	s_mul_i32 s0, s12, s20
	s_addc_u32 s3, s35, s1
	s_ashr_i32 s1, s0, 31
	s_lshl_b64 s[0:1], s[0:1], 2
	s_add_u32 s2, s2, s0
	s_mul_i32 s0, s13, s16
	s_addc_u32 s3, s3, s1
	s_ashr_i32 s1, s0, 31
	s_lshl_b64 s[0:1], s[0:1], 2
	v_mov_b32_e32 v0, 0
	s_add_u32 s2, s2, s0
	s_mul_i32 s0, s14, s10
	ds_read_b32 v1, v0
	s_addc_u32 s3, s3, s1
	s_ashr_i32 s1, s0, 31
	s_lshl_b64 s[0:1], s[0:1], 2
	s_add_u32 s0, s2, s0
	s_addc_u32 s1, s3, s1
	s_waitcnt lgkmcnt(0)
	global_store_dword v0, v1, s[0:1]
.LBB36_28:
	s_endpgm
.LBB36_29:                              ;   in Loop: Header=BB36_30 Depth=1
	s_or_b64 exec, exec, s[0:1]
	s_cmp_lt_u32 s44, 4
	s_mov_b32 s44, s2
	s_waitcnt lgkmcnt(0)
	s_barrier
	s_cbranch_scc1 .LBB36_26
.LBB36_30:                              ; =>This Inner Loop Header: Depth=1
	s_lshr_b32 s2, s44, 1
	v_cmp_gt_u32_e32 vcc, s2, v0
	s_and_saveexec_b64 s[0:1], vcc
	s_cbranch_execz .LBB36_29
; %bb.31:                               ;   in Loop: Header=BB36_30 Depth=1
	v_lshl_add_u32 v2, s2, 2, v1
	ds_read_b32 v2, v2
	ds_read_b32 v3, v1
	s_waitcnt lgkmcnt(0)
	v_add_f32_e32 v2, v2, v3
	ds_write_b32 v1, v2
	s_branch .LBB36_29
.LBB36_32:
	s_trap 2
	; divergent unreachable
	s_cbranch_execz .LBB36_25
	s_branch .LBB36_28
	.section	.rodata,"a",@progbits
	.p2align	6, 0x0
	.amdhsa_kernel _ZN2at6native12_GLOBAL__N_144conv_depthwise3d_cuda_backward_weight_kernelIffLi2ELi2EEEvN5torch10headeronly6detail27GenericPackedTensorAccessorINS5_14TensorAccessorIN3c108ArrayRefIlEEKT_Lm4ENS4_16DefaultPtrTraitsEiEENS_6detail16IndexBoundsCheckILm5EiEESC_Lm5ESD_iEESI_NS6_INS7_ISA_SB_Lm4ESD_iEESH_SB_Lm5ESD_iEEiiiiiiiii
		.amdhsa_group_segment_fixed_size 0
		.amdhsa_private_segment_fixed_size 0
		.amdhsa_kernarg_size 440
		.amdhsa_user_sgpr_count 6
		.amdhsa_user_sgpr_private_segment_buffer 1
		.amdhsa_user_sgpr_dispatch_ptr 0
		.amdhsa_user_sgpr_queue_ptr 0
		.amdhsa_user_sgpr_kernarg_segment_ptr 1
		.amdhsa_user_sgpr_dispatch_id 0
		.amdhsa_user_sgpr_flat_scratch_init 0
		.amdhsa_user_sgpr_kernarg_preload_length 0
		.amdhsa_user_sgpr_kernarg_preload_offset 0
		.amdhsa_user_sgpr_private_segment_size 0
		.amdhsa_uses_dynamic_stack 0
		.amdhsa_system_sgpr_private_segment_wavefront_offset 0
		.amdhsa_system_sgpr_workgroup_id_x 1
		.amdhsa_system_sgpr_workgroup_id_y 0
		.amdhsa_system_sgpr_workgroup_id_z 0
		.amdhsa_system_sgpr_workgroup_info 0
		.amdhsa_system_vgpr_workitem_id 0
		.amdhsa_next_free_vgpr 20
		.amdhsa_next_free_sgpr 50
		.amdhsa_accum_offset 20
		.amdhsa_reserve_vcc 1
		.amdhsa_reserve_flat_scratch 0
		.amdhsa_float_round_mode_32 0
		.amdhsa_float_round_mode_16_64 0
		.amdhsa_float_denorm_mode_32 3
		.amdhsa_float_denorm_mode_16_64 3
		.amdhsa_dx10_clamp 1
		.amdhsa_ieee_mode 1
		.amdhsa_fp16_overflow 0
		.amdhsa_tg_split 0
		.amdhsa_exception_fp_ieee_invalid_op 0
		.amdhsa_exception_fp_denorm_src 0
		.amdhsa_exception_fp_ieee_div_zero 0
		.amdhsa_exception_fp_ieee_overflow 0
		.amdhsa_exception_fp_ieee_underflow 0
		.amdhsa_exception_fp_ieee_inexact 0
		.amdhsa_exception_int_div_zero 0
	.end_amdhsa_kernel
	.section	.text._ZN2at6native12_GLOBAL__N_144conv_depthwise3d_cuda_backward_weight_kernelIffLi2ELi2EEEvN5torch10headeronly6detail27GenericPackedTensorAccessorINS5_14TensorAccessorIN3c108ArrayRefIlEEKT_Lm4ENS4_16DefaultPtrTraitsEiEENS_6detail16IndexBoundsCheckILm5EiEESC_Lm5ESD_iEESI_NS6_INS7_ISA_SB_Lm4ESD_iEESH_SB_Lm5ESD_iEEiiiiiiiii,"axG",@progbits,_ZN2at6native12_GLOBAL__N_144conv_depthwise3d_cuda_backward_weight_kernelIffLi2ELi2EEEvN5torch10headeronly6detail27GenericPackedTensorAccessorINS5_14TensorAccessorIN3c108ArrayRefIlEEKT_Lm4ENS4_16DefaultPtrTraitsEiEENS_6detail16IndexBoundsCheckILm5EiEESC_Lm5ESD_iEESI_NS6_INS7_ISA_SB_Lm4ESD_iEESH_SB_Lm5ESD_iEEiiiiiiiii,comdat
.Lfunc_end36:
	.size	_ZN2at6native12_GLOBAL__N_144conv_depthwise3d_cuda_backward_weight_kernelIffLi2ELi2EEEvN5torch10headeronly6detail27GenericPackedTensorAccessorINS5_14TensorAccessorIN3c108ArrayRefIlEEKT_Lm4ENS4_16DefaultPtrTraitsEiEENS_6detail16IndexBoundsCheckILm5EiEESC_Lm5ESD_iEESI_NS6_INS7_ISA_SB_Lm4ESD_iEESH_SB_Lm5ESD_iEEiiiiiiiii, .Lfunc_end36-_ZN2at6native12_GLOBAL__N_144conv_depthwise3d_cuda_backward_weight_kernelIffLi2ELi2EEEvN5torch10headeronly6detail27GenericPackedTensorAccessorINS5_14TensorAccessorIN3c108ArrayRefIlEEKT_Lm4ENS4_16DefaultPtrTraitsEiEENS_6detail16IndexBoundsCheckILm5EiEESC_Lm5ESD_iEESI_NS6_INS7_ISA_SB_Lm4ESD_iEESH_SB_Lm5ESD_iEEiiiiiiiii
                                        ; -- End function
	.section	.AMDGPU.csdata,"",@progbits
; Kernel info:
; codeLenInByte = 1796
; NumSgprs: 54
; NumVgprs: 20
; NumAgprs: 0
; TotalNumVgprs: 20
; ScratchSize: 0
; MemoryBound: 0
; FloatMode: 240
; IeeeMode: 1
; LDSByteSize: 0 bytes/workgroup (compile time only)
; SGPRBlocks: 6
; VGPRBlocks: 2
; NumSGPRsForWavesPerEU: 54
; NumVGPRsForWavesPerEU: 20
; AccumOffset: 20
; Occupancy: 8
; WaveLimiterHint : 1
; COMPUTE_PGM_RSRC2:SCRATCH_EN: 0
; COMPUTE_PGM_RSRC2:USER_SGPR: 6
; COMPUTE_PGM_RSRC2:TRAP_HANDLER: 0
; COMPUTE_PGM_RSRC2:TGID_X_EN: 1
; COMPUTE_PGM_RSRC2:TGID_Y_EN: 0
; COMPUTE_PGM_RSRC2:TGID_Z_EN: 0
; COMPUTE_PGM_RSRC2:TIDIG_COMP_CNT: 0
; COMPUTE_PGM_RSRC3_GFX90A:ACCUM_OFFSET: 4
; COMPUTE_PGM_RSRC3_GFX90A:TG_SPLIT: 0
	.section	.text._ZN2at6native12_GLOBAL__N_144conv_depthwise3d_cuda_backward_weight_kernelIffLin1ELin1EEEvN5torch10headeronly6detail27GenericPackedTensorAccessorINS5_14TensorAccessorIN3c108ArrayRefIlEEKT_Lm4ENS4_16DefaultPtrTraitsEiEENS_6detail16IndexBoundsCheckILm5EiEESC_Lm5ESD_iEESI_NS6_INS7_ISA_SB_Lm4ESD_iEESH_SB_Lm5ESD_iEEiiiiiiiii,"axG",@progbits,_ZN2at6native12_GLOBAL__N_144conv_depthwise3d_cuda_backward_weight_kernelIffLin1ELin1EEEvN5torch10headeronly6detail27GenericPackedTensorAccessorINS5_14TensorAccessorIN3c108ArrayRefIlEEKT_Lm4ENS4_16DefaultPtrTraitsEiEENS_6detail16IndexBoundsCheckILm5EiEESC_Lm5ESD_iEESI_NS6_INS7_ISA_SB_Lm4ESD_iEESH_SB_Lm5ESD_iEEiiiiiiiii,comdat
	.globl	_ZN2at6native12_GLOBAL__N_144conv_depthwise3d_cuda_backward_weight_kernelIffLin1ELin1EEEvN5torch10headeronly6detail27GenericPackedTensorAccessorINS5_14TensorAccessorIN3c108ArrayRefIlEEKT_Lm4ENS4_16DefaultPtrTraitsEiEENS_6detail16IndexBoundsCheckILm5EiEESC_Lm5ESD_iEESI_NS6_INS7_ISA_SB_Lm4ESD_iEESH_SB_Lm5ESD_iEEiiiiiiiii ; -- Begin function _ZN2at6native12_GLOBAL__N_144conv_depthwise3d_cuda_backward_weight_kernelIffLin1ELin1EEEvN5torch10headeronly6detail27GenericPackedTensorAccessorINS5_14TensorAccessorIN3c108ArrayRefIlEEKT_Lm4ENS4_16DefaultPtrTraitsEiEENS_6detail16IndexBoundsCheckILm5EiEESC_Lm5ESD_iEESI_NS6_INS7_ISA_SB_Lm4ESD_iEESH_SB_Lm5ESD_iEEiiiiiiiii
	.p2align	8
	.type	_ZN2at6native12_GLOBAL__N_144conv_depthwise3d_cuda_backward_weight_kernelIffLin1ELin1EEEvN5torch10headeronly6detail27GenericPackedTensorAccessorINS5_14TensorAccessorIN3c108ArrayRefIlEEKT_Lm4ENS4_16DefaultPtrTraitsEiEENS_6detail16IndexBoundsCheckILm5EiEESC_Lm5ESD_iEESI_NS6_INS7_ISA_SB_Lm4ESD_iEESH_SB_Lm5ESD_iEEiiiiiiiii,@function
_ZN2at6native12_GLOBAL__N_144conv_depthwise3d_cuda_backward_weight_kernelIffLin1ELin1EEEvN5torch10headeronly6detail27GenericPackedTensorAccessorINS5_14TensorAccessorIN3c108ArrayRefIlEEKT_Lm4ENS4_16DefaultPtrTraitsEiEENS_6detail16IndexBoundsCheckILm5EiEESC_Lm5ESD_iEESI_NS6_INS7_ISA_SB_Lm4ESD_iEESH_SB_Lm5ESD_iEEiiiiiiiii: ; @_ZN2at6native12_GLOBAL__N_144conv_depthwise3d_cuda_backward_weight_kernelIffLin1ELin1EEEvN5torch10headeronly6detail27GenericPackedTensorAccessorINS5_14TensorAccessorIN3c108ArrayRefIlEEKT_Lm4ENS4_16DefaultPtrTraitsEiEENS_6detail16IndexBoundsCheckILm5EiEESC_Lm5ESD_iEESI_NS6_INS7_ISA_SB_Lm4ESD_iEESH_SB_Lm5ESD_iEEiiiiiiiii
; %bb.0:
	s_load_dwordx4 s[16:19], s[4:5], 0x70
	s_add_u32 s28, s4, 0x60
	s_addc_u32 s29, s5, 0
	s_load_dwordx4 s[20:23], s[4:5], 0x3c
	s_load_dwordx4 s[24:27], s[4:5], 0xc
	s_waitcnt lgkmcnt(0)
	v_cvt_f32_u32_e32 v1, s18
	v_cvt_f32_u32_e32 v2, s17
	s_sub_i32 s0, 0, s18
	v_rcp_iflag_f32_e32 v1, v1
	v_rcp_iflag_f32_e32 v2, v2
	v_mul_f32_e32 v1, 0x4f7ffffe, v1
	v_cvt_u32_f32_e32 v1, v1
	v_mul_f32_e32 v2, 0x4f7ffffe, v2
	v_cvt_u32_f32_e32 v2, v2
	v_readfirstlane_b32 s1, v1
	s_mul_i32 s0, s0, s1
	s_mul_hi_u32 s0, s1, s0
	s_add_i32 s1, s1, s0
	s_mul_hi_u32 s0, s6, s1
	s_mul_i32 s1, s0, s18
	s_sub_i32 s1, s6, s1
	s_add_i32 s3, s0, 1
	s_sub_i32 s7, s1, s18
	s_cmp_ge_u32 s1, s18
	s_cselect_b32 s0, s3, s0
	s_cselect_b32 s1, s7, s1
	s_add_i32 s3, s0, 1
	s_cmp_ge_u32 s1, s18
	v_cvt_f32_u32_e32 v1, s16
	v_readfirstlane_b32 s2, v2
	s_cselect_b32 s7, s3, s0
	s_sub_i32 s0, 0, s17
	s_mul_i32 s0, s0, s2
	s_mul_hi_u32 s0, s2, s0
	s_add_i32 s2, s2, s0
	v_rcp_iflag_f32_e32 v1, v1
	s_mul_hi_u32 s0, s7, s2
	s_mul_i32 s1, s0, s17
	s_sub_i32 s1, s7, s1
	s_add_i32 s2, s0, 1
	s_sub_i32 s3, s1, s17
	v_mul_f32_e32 v1, 0x4f7ffffe, v1
	s_cmp_ge_u32 s1, s17
	v_cvt_u32_f32_e32 v1, v1
	s_cselect_b32 s0, s2, s0
	s_cselect_b32 s1, s3, s1
	s_add_i32 s2, s0, 1
	s_cmp_ge_u32 s1, s17
	s_cselect_b32 s30, s2, s0
	s_sub_i32 s0, 0, s16
	v_readfirstlane_b32 s1, v1
	s_mul_i32 s0, s0, s1
	s_mul_hi_u32 s0, s1, s0
	s_add_i32 s1, s1, s0
	s_mul_hi_u32 s0, s30, s1
	s_mul_i32 s1, s0, s16
	s_sub_i32 s1, s30, s1
	s_add_i32 s2, s0, 1
	s_sub_i32 s3, s1, s16
	s_cmp_ge_u32 s1, s16
	s_cselect_b32 s0, s2, s0
	s_cselect_b32 s1, s3, s1
	s_add_i32 s2, s0, 1
	s_cmp_ge_u32 s1, s16
	s_cselect_b32 s33, s2, s0
	s_abs_i32 s0, s20
	v_cvt_f32_u32_e32 v1, s0
	s_sub_i32 s3, 0, s0
	s_abs_i32 s2, s24
	s_xor_b32 s1, s24, s20
	v_rcp_iflag_f32_e32 v1, v1
	s_ashr_i32 s1, s1, 31
	v_mul_f32_e32 v1, 0x4f7ffffe, v1
	v_cvt_u32_f32_e32 v1, v1
	v_readfirstlane_b32 s8, v1
	s_mul_i32 s3, s3, s8
	s_mul_hi_u32 s3, s8, s3
	s_add_i32 s8, s8, s3
	s_mul_hi_u32 s3, s2, s8
	s_mul_i32 s8, s3, s0
	s_sub_i32 s2, s2, s8
	s_add_i32 s8, s3, 1
	s_sub_i32 s9, s2, s0
	s_cmp_ge_u32 s2, s0
	s_cselect_b32 s3, s8, s3
	s_cselect_b32 s2, s9, s2
	s_add_i32 s8, s3, 1
	s_cmp_ge_u32 s2, s0
	s_cselect_b32 s0, s8, s3
	s_xor_b32 s0, s0, s1
	s_sub_i32 s36, s0, s1
	s_abs_i32 s31, s36
	v_cvt_f32_u32_e32 v1, s31
	s_load_dword s0, s[4:5], 0x68
	v_rcp_iflag_f32_e32 v1, v1
	s_waitcnt lgkmcnt(0)
	s_cmp_ge_i32 s33, s0
	v_mul_f32_e32 v1, 0x4f7ffffe, v1
	v_cvt_u32_f32_e32 v1, v1
	v_readfirstlane_b32 s37, v1
	s_cbranch_scc1 .LBB37_28
; %bb.1:
	s_mul_i32 s18, s7, s18
	s_sub_i32 s18, s6, s18
	s_mul_i32 s6, s30, s17
	s_load_dwordx4 s[0:3], s[28:29], 0x44
	s_load_dwordx2 s[34:35], s[28:29], 0x0
	s_load_dwordx8 s[8:15], s[28:29], 0x24
	s_sub_i32 s20, s7, s6
	s_load_dword s6, s[4:5], 0xc4
	s_load_dword s47, s[4:5], 0x38
	s_mul_i32 s7, s33, s16
	v_lshrrev_b32_e32 v1, 6, v0
	s_sub_i32 s24, s30, s7
	s_waitcnt lgkmcnt(0)
	s_and_b32 s46, s6, 0xffff
	s_mul_i32 s47, s47, s25
	v_cmp_gt_i32_e32 vcc, s47, v1
	v_mov_b32_e32 v8, 0
	s_and_saveexec_b64 s[6:7], vcc
	s_cbranch_execz .LBB37_23
; %bb.2:
	s_sub_i32 s29, 0, s31
	s_mul_i32 s29, s29, s37
	s_mul_hi_u32 s29, s37, s29
	s_abs_i32 s28, s33
	s_add_i32 s37, s37, s29
	s_ashr_i32 s16, s33, 31
	s_ashr_i32 s17, s36, 31
	s_mul_hi_u32 s29, s28, s37
	s_xor_b32 s16, s16, s17
	s_mul_i32 s17, s29, s31
	s_sub_i32 s17, s28, s17
	s_lshr_b32 s48, s46, 6
	s_add_i32 s28, s29, 1
	s_sub_i32 s30, s17, s31
	s_cmp_ge_u32 s17, s31
	s_cselect_b32 s28, s28, s29
	s_cselect_b32 s17, s30, s17
	s_add_i32 s29, s28, 1
	s_cmp_ge_u32 s17, s31
	s_cselect_b32 s17, s29, s28
	s_abs_i32 s28, s25
	v_cvt_f32_u32_e32 v2, s28
	s_xor_b32 s17, s17, s16
	s_sub_i32 s44, s17, s16
	s_sub_i32 s16, 0, s28
	v_rcp_iflag_f32_e32 v3, v2
	s_ashr_i32 s36, s25, 31
	s_mul_i32 s1, s24, s1
	s_mul_i32 s3, s18, s3
	v_mul_f32_e32 v3, 0x4f7ffffe, v3
	v_cvt_u32_f32_e32 v3, v3
	v_and_b32_e32 v2, 63, v0
	v_mov_b32_e32 v7, 0
	v_lshlrev_b32_e32 v11, 2, v2
	v_mul_lo_u32 v4, s16, v3
	v_mul_hi_u32 v4, v3, v4
	v_add_u32_e32 v3, v3, v4
	v_mul_hi_u32 v3, v1, v3
	v_mul_lo_u32 v4, v3, s28
	v_sub_u32_e32 v4, v1, v4
	v_add_u32_e32 v5, 1, v3
	v_cmp_le_u32_e32 vcc, s28, v4
	v_cndmask_b32_e32 v3, v3, v5, vcc
	v_subrev_u32_e32 v5, s28, v4
	v_cndmask_b32_e32 v4, v4, v5, vcc
	v_add_u32_e32 v5, 1, v3
	v_cmp_le_u32_e32 vcc, s28, v4
	s_load_dwordx2 s[16:17], s[4:5], 0x0
	s_load_dwordx4 s[28:31], s[4:5], 0x1c
	v_cndmask_b32_e32 v3, v3, v5, vcc
	v_xor_b32_e32 v3, s36, v3
	v_subrev_u32_e32 v5, s36, v3
	s_load_dwordx2 s[42:43], s[4:5], 0x30
	s_load_dwordx4 s[36:39], s[4:5], 0x4c
	s_waitcnt lgkmcnt(0)
	s_mul_i32 s40, s29, s33
	s_ashr_i32 s41, s40, 31
	s_sub_i32 s31, s1, s14
	s_lshl_b64 s[4:5], s[40:41], 2
	s_add_u32 s29, s16, s4
	s_mul_i32 s4, s37, s44
	s_addc_u32 s39, s17, s5
	s_ashr_i32 s5, s4, 31
	s_lshl_b64 s[4:5], s[4:5], 2
	s_add_u32 s37, s42, s4
	s_addc_u32 s49, s43, s5
	s_abs_i32 s1, s27
	v_cvt_f32_u32_e32 v3, s1
	v_mul_lo_u32 v4, v5, s25
	s_sub_i32 s50, s3, s0
	s_mul_i32 s0, s20, s2
	v_rcp_iflag_f32_e32 v3, v3
	s_sub_i32 s2, 0, s1
	v_sub_u32_e32 v6, v1, v4
	s_sub_i32 s51, s0, s15
	v_mul_f32_e32 v3, 0x4f7ffffe, v3
	v_cvt_u32_f32_e32 v3, v3
	s_ashr_i32 s0, s27, 31
	s_mov_b64 s[14:15], 0
	v_mul_lo_u32 v4, s2, v3
	v_mul_hi_u32 v4, v3, v4
	v_add_u32_e32 v3, v3, v4
	v_mul_hi_u32 v3, v2, v3
	v_mul_lo_u32 v4, v3, s1
	v_sub_u32_e32 v4, v2, v4
	v_add_u32_e32 v8, 1, v3
	v_cmp_le_u32_e32 vcc, s1, v4
	v_cndmask_b32_e32 v3, v3, v8, vcc
	v_subrev_u32_e32 v8, s1, v4
	v_cndmask_b32_e32 v4, v4, v8, vcc
	v_add_u32_e32 v8, 1, v3
	v_cmp_le_u32_e32 vcc, s1, v4
	v_cndmask_b32_e32 v3, v3, v8, vcc
	v_xor_b32_e32 v3, s0, v3
	v_subrev_u32_e32 v9, s0, v3
	v_mul_lo_u32 v3, v9, s27
	v_cmp_gt_i32_e64 s[0:1], s26, v9
	v_sub_u32_e32 v10, v2, v3
	v_mov_b32_e32 v8, 0
	s_branch .LBB37_6
.LBB37_3:                               ;   in Loop: Header=BB37_6 Depth=1
	s_or_b64 exec, exec, s[42:43]
.LBB37_4:                               ;   in Loop: Header=BB37_6 Depth=1
	s_or_b64 exec, exec, s[40:41]
.LBB37_5:                               ;   in Loop: Header=BB37_6 Depth=1
	s_or_b64 exec, exec, s[16:17]
	v_add_u32_e32 v1, s48, v1
	v_cmp_le_i32_e32 vcc, s47, v1
	s_or_b64 s[14:15], vcc, s[14:15]
	v_add_u32_e32 v6, s48, v6
	s_andn2_b64 exec, exec, s[14:15]
	s_cbranch_execz .LBB37_22
.LBB37_6:                               ; =>This Loop Header: Depth=1
                                        ;     Child Loop BB37_8 Depth 2
                                        ;     Child Loop BB37_14 Depth 2
                                        ;       Child Loop BB37_20 Depth 3
	v_cmp_le_i32_e32 vcc, s25, v6
	s_and_saveexec_b64 s[2:3], vcc
	s_cbranch_execz .LBB37_10
; %bb.7:                                ;   in Loop: Header=BB37_6 Depth=1
	s_mov_b64 s[4:5], 0
.LBB37_8:                               ;   Parent Loop BB37_6 Depth=1
                                        ; =>  This Inner Loop Header: Depth=2
	v_subrev_u32_e32 v6, s25, v6
	v_cmp_gt_i32_e32 vcc, s25, v6
	s_or_b64 s[4:5], vcc, s[4:5]
	v_add_u32_e32 v5, 1, v5
	s_andn2_b64 exec, exec, s[4:5]
	s_cbranch_execnz .LBB37_8
; %bb.9:                                ;   in Loop: Header=BB37_6 Depth=1
	s_or_b64 exec, exec, s[4:5]
.LBB37_10:                              ;   in Loop: Header=BB37_6 Depth=1
	s_or_b64 exec, exec, s[2:3]
	v_mul_lo_u32 v2, v6, s11
	v_add_u32_e32 v2, s31, v2
	v_cmp_lt_i32_e32 vcc, -1, v2
	v_cmp_gt_i32_e64 s[2:3], s21, v2
	s_and_b64 s[2:3], vcc, s[2:3]
	s_and_saveexec_b64 s[16:17], s[2:3]
	s_cbranch_execz .LBB37_5
; %bb.11:                               ;   in Loop: Header=BB37_6 Depth=1
	s_and_saveexec_b64 s[40:41], s[0:1]
	s_cbranch_execz .LBB37_4
; %bb.12:                               ;   in Loop: Header=BB37_6 Depth=1
	v_mul_lo_u32 v12, s36, v5
	v_ashrrev_i32_e32 v13, 31, v12
	v_lshlrev_b64 v[12:13], 2, v[12:13]
	v_mov_b32_e32 v3, s49
	v_add_co_u32_e32 v4, vcc, s37, v12
	v_mul_lo_u32 v2, s38, v2
	v_addc_co_u32_e32 v13, vcc, v3, v13, vcc
	v_ashrrev_i32_e32 v3, 31, v2
	v_lshlrev_b64 v[2:3], 2, v[2:3]
	v_add_co_u32_e32 v12, vcc, v4, v2
	v_mul_lo_u32 v2, s28, v5
	v_addc_co_u32_e32 v13, vcc, v13, v3, vcc
	v_ashrrev_i32_e32 v3, 31, v2
	v_lshlrev_b64 v[2:3], 2, v[2:3]
	v_mov_b32_e32 v4, s39
	v_add_co_u32_e32 v14, vcc, s29, v2
	v_mul_lo_u32 v2, s30, v6
	v_addc_co_u32_e32 v4, vcc, v4, v3, vcc
	v_ashrrev_i32_e32 v3, 31, v2
	v_lshlrev_b64 v[2:3], 2, v[2:3]
	v_add_co_u32_e32 v2, vcc, v14, v2
	v_addc_co_u32_e32 v3, vcc, v4, v3, vcc
	v_add_co_u32_e32 v2, vcc, v2, v11
	v_addc_co_u32_e32 v3, vcc, 0, v3, vcc
	s_mov_b64 s[42:43], 0
	v_mov_b32_e32 v14, v10
	v_mov_b32_e32 v15, v9
	s_branch .LBB37_14
.LBB37_13:                              ;   in Loop: Header=BB37_14 Depth=2
	s_or_b64 exec, exec, s[2:3]
	v_add_co_u32_e32 v2, vcc, 0x100, v2
	v_addc_co_u32_e32 v3, vcc, 0, v3, vcc
	v_cmp_le_i32_e32 vcc, s26, v15
	s_or_b64 s[42:43], vcc, s[42:43]
	s_waitcnt vmcnt(0)
	v_fmac_f32_e32 v8, v16, v17
	s_andn2_b64 exec, exec, s[42:43]
	s_cbranch_execz .LBB37_3
.LBB37_14:                              ;   Parent Loop BB37_6 Depth=1
                                        ; =>  This Loop Header: Depth=2
                                        ;       Child Loop BB37_20 Depth 3
	global_load_dword v16, v[2:3], off
	v_mul_lo_u32 v4, v14, s13
	v_add_u32_e32 v4, s50, v4
	v_cmp_lt_i32_e32 vcc, -1, v4
	v_mov_b32_e32 v17, 0
	s_and_saveexec_b64 s[44:45], vcc
	s_cbranch_execz .LBB37_18
; %bb.15:                               ;   in Loop: Header=BB37_14 Depth=2
	v_mul_lo_u32 v17, v15, s12
	v_add_u32_e32 v18, s51, v17
	v_cmp_gt_i32_e32 vcc, s23, v4
	v_cmp_gt_i32_e64 s[4:5], s22, v18
	v_cmp_lt_i32_e64 s[2:3], -1, v18
	s_and_b64 s[4:5], vcc, s[4:5]
	s_and_b64 s[4:5], s[4:5], s[2:3]
	v_mov_b32_e32 v17, 0
	s_and_saveexec_b64 s[2:3], s[4:5]
	s_cbranch_execz .LBB37_17
; %bb.16:                               ;   in Loop: Header=BB37_14 Depth=2
	v_mad_u64_u32 v[18:19], s[4:5], v18, s23, v[4:5]
	v_mov_b32_e32 v19, v7
	v_lshlrev_b64 v[18:19], 2, v[18:19]
	v_add_co_u32_e32 v18, vcc, v12, v18
	v_addc_co_u32_e32 v19, vcc, v13, v19, vcc
	global_load_dword v17, v[18:19], off
.LBB37_17:                              ;   in Loop: Header=BB37_14 Depth=2
	s_or_b64 exec, exec, s[2:3]
.LBB37_18:                              ;   in Loop: Header=BB37_14 Depth=2
	s_or_b64 exec, exec, s[44:45]
	v_add_u32_e32 v14, 64, v14
	v_cmp_le_i32_e32 vcc, s27, v14
	s_and_saveexec_b64 s[2:3], vcc
	s_cbranch_execz .LBB37_13
; %bb.19:                               ;   in Loop: Header=BB37_14 Depth=2
	s_mov_b64 s[4:5], 0
.LBB37_20:                              ;   Parent Loop BB37_6 Depth=1
                                        ;     Parent Loop BB37_14 Depth=2
                                        ; =>    This Inner Loop Header: Depth=3
	v_subrev_u32_e32 v14, s27, v14
	v_cmp_gt_i32_e32 vcc, s27, v14
	s_or_b64 s[4:5], vcc, s[4:5]
	v_add_u32_e32 v15, 1, v15
	s_andn2_b64 exec, exec, s[4:5]
	s_cbranch_execnz .LBB37_20
; %bb.21:                               ;   in Loop: Header=BB37_14 Depth=2
	s_or_b64 exec, exec, s[4:5]
	s_branch .LBB37_13
.LBB37_22:
	s_or_b64 exec, exec, s[14:15]
.LBB37_23:
	s_or_b64 exec, exec, s[6:7]
	s_bcnt1_i32_b32 s0, s46
	v_lshl_add_u32 v1, v0, 2, 0
	s_cmp_lg_u32 s0, 1
	s_mov_b64 s[0:1], -1
	ds_write_b32 v1, v8
	s_waitcnt lgkmcnt(0)
	s_barrier
	s_cbranch_scc1 .LBB37_32
; %bb.24:
	s_andn2_b64 vcc, exec, s[0:1]
	s_cbranch_vccnz .LBB37_28
.LBB37_25:
	s_cmp_lt_u32 s46, 2
	s_cbranch_scc0 .LBB37_30
.LBB37_26:
	v_cmp_eq_u32_e32 vcc, 0, v0
	s_and_saveexec_b64 s[0:1], vcc
	s_cbranch_execz .LBB37_28
; %bb.27:
	s_mul_i32 s0, s19, s33
	s_ashr_i32 s1, s0, 31
	s_lshl_b64 s[0:1], s[0:1], 2
	s_add_u32 s2, s34, s0
	s_mul_i32 s0, s8, s24
	s_addc_u32 s3, s35, s1
	s_ashr_i32 s1, s0, 31
	s_lshl_b64 s[0:1], s[0:1], 2
	s_add_u32 s2, s2, s0
	s_mul_i32 s0, s9, s20
	s_addc_u32 s3, s3, s1
	s_ashr_i32 s1, s0, 31
	s_lshl_b64 s[0:1], s[0:1], 2
	v_mov_b32_e32 v0, 0
	s_add_u32 s2, s2, s0
	s_mul_i32 s0, s10, s18
	ds_read_b32 v1, v0
	s_addc_u32 s3, s3, s1
	s_ashr_i32 s1, s0, 31
	s_lshl_b64 s[0:1], s[0:1], 2
	s_add_u32 s0, s2, s0
	s_addc_u32 s1, s3, s1
	s_waitcnt lgkmcnt(0)
	global_store_dword v0, v1, s[0:1]
.LBB37_28:
	s_endpgm
.LBB37_29:                              ;   in Loop: Header=BB37_30 Depth=1
	s_or_b64 exec, exec, s[0:1]
	s_cmp_lt_u32 s46, 4
	s_mov_b32 s46, s2
	s_waitcnt lgkmcnt(0)
	s_barrier
	s_cbranch_scc1 .LBB37_26
.LBB37_30:                              ; =>This Inner Loop Header: Depth=1
	s_lshr_b32 s2, s46, 1
	v_cmp_gt_u32_e32 vcc, s2, v0
	s_and_saveexec_b64 s[0:1], vcc
	s_cbranch_execz .LBB37_29
; %bb.31:                               ;   in Loop: Header=BB37_30 Depth=1
	v_lshl_add_u32 v2, s2, 2, v1
	ds_read_b32 v2, v2
	ds_read_b32 v3, v1
	s_waitcnt lgkmcnt(0)
	v_add_f32_e32 v2, v2, v3
	ds_write_b32 v1, v2
	s_branch .LBB37_29
.LBB37_32:
	s_trap 2
	; divergent unreachable
	s_cbranch_execz .LBB37_25
	s_branch .LBB37_28
	.section	.rodata,"a",@progbits
	.p2align	6, 0x0
	.amdhsa_kernel _ZN2at6native12_GLOBAL__N_144conv_depthwise3d_cuda_backward_weight_kernelIffLin1ELin1EEEvN5torch10headeronly6detail27GenericPackedTensorAccessorINS5_14TensorAccessorIN3c108ArrayRefIlEEKT_Lm4ENS4_16DefaultPtrTraitsEiEENS_6detail16IndexBoundsCheckILm5EiEESC_Lm5ESD_iEESI_NS6_INS7_ISA_SB_Lm4ESD_iEESH_SB_Lm5ESD_iEEiiiiiiiii
		.amdhsa_group_segment_fixed_size 0
		.amdhsa_private_segment_fixed_size 0
		.amdhsa_kernarg_size 440
		.amdhsa_user_sgpr_count 6
		.amdhsa_user_sgpr_private_segment_buffer 1
		.amdhsa_user_sgpr_dispatch_ptr 0
		.amdhsa_user_sgpr_queue_ptr 0
		.amdhsa_user_sgpr_kernarg_segment_ptr 1
		.amdhsa_user_sgpr_dispatch_id 0
		.amdhsa_user_sgpr_flat_scratch_init 0
		.amdhsa_user_sgpr_kernarg_preload_length 0
		.amdhsa_user_sgpr_kernarg_preload_offset 0
		.amdhsa_user_sgpr_private_segment_size 0
		.amdhsa_uses_dynamic_stack 0
		.amdhsa_system_sgpr_private_segment_wavefront_offset 0
		.amdhsa_system_sgpr_workgroup_id_x 1
		.amdhsa_system_sgpr_workgroup_id_y 0
		.amdhsa_system_sgpr_workgroup_id_z 0
		.amdhsa_system_sgpr_workgroup_info 0
		.amdhsa_system_vgpr_workitem_id 0
		.amdhsa_next_free_vgpr 20
		.amdhsa_next_free_sgpr 52
		.amdhsa_accum_offset 20
		.amdhsa_reserve_vcc 1
		.amdhsa_reserve_flat_scratch 0
		.amdhsa_float_round_mode_32 0
		.amdhsa_float_round_mode_16_64 0
		.amdhsa_float_denorm_mode_32 3
		.amdhsa_float_denorm_mode_16_64 3
		.amdhsa_dx10_clamp 1
		.amdhsa_ieee_mode 1
		.amdhsa_fp16_overflow 0
		.amdhsa_tg_split 0
		.amdhsa_exception_fp_ieee_invalid_op 0
		.amdhsa_exception_fp_denorm_src 0
		.amdhsa_exception_fp_ieee_div_zero 0
		.amdhsa_exception_fp_ieee_overflow 0
		.amdhsa_exception_fp_ieee_underflow 0
		.amdhsa_exception_fp_ieee_inexact 0
		.amdhsa_exception_int_div_zero 0
	.end_amdhsa_kernel
	.section	.text._ZN2at6native12_GLOBAL__N_144conv_depthwise3d_cuda_backward_weight_kernelIffLin1ELin1EEEvN5torch10headeronly6detail27GenericPackedTensorAccessorINS5_14TensorAccessorIN3c108ArrayRefIlEEKT_Lm4ENS4_16DefaultPtrTraitsEiEENS_6detail16IndexBoundsCheckILm5EiEESC_Lm5ESD_iEESI_NS6_INS7_ISA_SB_Lm4ESD_iEESH_SB_Lm5ESD_iEEiiiiiiiii,"axG",@progbits,_ZN2at6native12_GLOBAL__N_144conv_depthwise3d_cuda_backward_weight_kernelIffLin1ELin1EEEvN5torch10headeronly6detail27GenericPackedTensorAccessorINS5_14TensorAccessorIN3c108ArrayRefIlEEKT_Lm4ENS4_16DefaultPtrTraitsEiEENS_6detail16IndexBoundsCheckILm5EiEESC_Lm5ESD_iEESI_NS6_INS7_ISA_SB_Lm4ESD_iEESH_SB_Lm5ESD_iEEiiiiiiiii,comdat
.Lfunc_end37:
	.size	_ZN2at6native12_GLOBAL__N_144conv_depthwise3d_cuda_backward_weight_kernelIffLin1ELin1EEEvN5torch10headeronly6detail27GenericPackedTensorAccessorINS5_14TensorAccessorIN3c108ArrayRefIlEEKT_Lm4ENS4_16DefaultPtrTraitsEiEENS_6detail16IndexBoundsCheckILm5EiEESC_Lm5ESD_iEESI_NS6_INS7_ISA_SB_Lm4ESD_iEESH_SB_Lm5ESD_iEEiiiiiiiii, .Lfunc_end37-_ZN2at6native12_GLOBAL__N_144conv_depthwise3d_cuda_backward_weight_kernelIffLin1ELin1EEEvN5torch10headeronly6detail27GenericPackedTensorAccessorINS5_14TensorAccessorIN3c108ArrayRefIlEEKT_Lm4ENS4_16DefaultPtrTraitsEiEENS_6detail16IndexBoundsCheckILm5EiEESC_Lm5ESD_iEESI_NS6_INS7_ISA_SB_Lm4ESD_iEESH_SB_Lm5ESD_iEEiiiiiiiii
                                        ; -- End function
	.section	.AMDGPU.csdata,"",@progbits
; Kernel info:
; codeLenInByte = 1792
; NumSgprs: 56
; NumVgprs: 20
; NumAgprs: 0
; TotalNumVgprs: 20
; ScratchSize: 0
; MemoryBound: 0
; FloatMode: 240
; IeeeMode: 1
; LDSByteSize: 0 bytes/workgroup (compile time only)
; SGPRBlocks: 6
; VGPRBlocks: 2
; NumSGPRsForWavesPerEU: 56
; NumVGPRsForWavesPerEU: 20
; AccumOffset: 20
; Occupancy: 8
; WaveLimiterHint : 1
; COMPUTE_PGM_RSRC2:SCRATCH_EN: 0
; COMPUTE_PGM_RSRC2:USER_SGPR: 6
; COMPUTE_PGM_RSRC2:TRAP_HANDLER: 0
; COMPUTE_PGM_RSRC2:TGID_X_EN: 1
; COMPUTE_PGM_RSRC2:TGID_Y_EN: 0
; COMPUTE_PGM_RSRC2:TGID_Z_EN: 0
; COMPUTE_PGM_RSRC2:TIDIG_COMP_CNT: 0
; COMPUTE_PGM_RSRC3_GFX90A:ACCUM_OFFSET: 4
; COMPUTE_PGM_RSRC3_GFX90A:TG_SPLIT: 0
	.section	.text._ZN2at6native12_GLOBAL__N_144conv_depthwise3d_cuda_backward_weight_kernelIN3c104HalfEfLi1ELi1EEEvN5torch10headeronly6detail27GenericPackedTensorAccessorINS7_14TensorAccessorINS3_8ArrayRefIlEEKT_Lm4ENS6_16DefaultPtrTraitsEiEENS_6detail16IndexBoundsCheckILm5EiEESD_Lm5ESE_iEESJ_NS8_INS9_ISB_SC_Lm4ESE_iEESI_SC_Lm5ESE_iEEiiiiiiiii,"axG",@progbits,_ZN2at6native12_GLOBAL__N_144conv_depthwise3d_cuda_backward_weight_kernelIN3c104HalfEfLi1ELi1EEEvN5torch10headeronly6detail27GenericPackedTensorAccessorINS7_14TensorAccessorINS3_8ArrayRefIlEEKT_Lm4ENS6_16DefaultPtrTraitsEiEENS_6detail16IndexBoundsCheckILm5EiEESD_Lm5ESE_iEESJ_NS8_INS9_ISB_SC_Lm4ESE_iEESI_SC_Lm5ESE_iEEiiiiiiiii,comdat
	.globl	_ZN2at6native12_GLOBAL__N_144conv_depthwise3d_cuda_backward_weight_kernelIN3c104HalfEfLi1ELi1EEEvN5torch10headeronly6detail27GenericPackedTensorAccessorINS7_14TensorAccessorINS3_8ArrayRefIlEEKT_Lm4ENS6_16DefaultPtrTraitsEiEENS_6detail16IndexBoundsCheckILm5EiEESD_Lm5ESE_iEESJ_NS8_INS9_ISB_SC_Lm4ESE_iEESI_SC_Lm5ESE_iEEiiiiiiiii ; -- Begin function _ZN2at6native12_GLOBAL__N_144conv_depthwise3d_cuda_backward_weight_kernelIN3c104HalfEfLi1ELi1EEEvN5torch10headeronly6detail27GenericPackedTensorAccessorINS7_14TensorAccessorINS3_8ArrayRefIlEEKT_Lm4ENS6_16DefaultPtrTraitsEiEENS_6detail16IndexBoundsCheckILm5EiEESD_Lm5ESE_iEESJ_NS8_INS9_ISB_SC_Lm4ESE_iEESI_SC_Lm5ESE_iEEiiiiiiiii
	.p2align	8
	.type	_ZN2at6native12_GLOBAL__N_144conv_depthwise3d_cuda_backward_weight_kernelIN3c104HalfEfLi1ELi1EEEvN5torch10headeronly6detail27GenericPackedTensorAccessorINS7_14TensorAccessorINS3_8ArrayRefIlEEKT_Lm4ENS6_16DefaultPtrTraitsEiEENS_6detail16IndexBoundsCheckILm5EiEESD_Lm5ESE_iEESJ_NS8_INS9_ISB_SC_Lm4ESE_iEESI_SC_Lm5ESE_iEEiiiiiiiii,@function
_ZN2at6native12_GLOBAL__N_144conv_depthwise3d_cuda_backward_weight_kernelIN3c104HalfEfLi1ELi1EEEvN5torch10headeronly6detail27GenericPackedTensorAccessorINS7_14TensorAccessorINS3_8ArrayRefIlEEKT_Lm4ENS6_16DefaultPtrTraitsEiEENS_6detail16IndexBoundsCheckILm5EiEESD_Lm5ESE_iEESJ_NS8_INS9_ISB_SC_Lm4ESE_iEESI_SC_Lm5ESE_iEEiiiiiiiii: ; @_ZN2at6native12_GLOBAL__N_144conv_depthwise3d_cuda_backward_weight_kernelIN3c104HalfEfLi1ELi1EEEvN5torch10headeronly6detail27GenericPackedTensorAccessorINS7_14TensorAccessorINS3_8ArrayRefIlEEKT_Lm4ENS6_16DefaultPtrTraitsEiEENS_6detail16IndexBoundsCheckILm5EiEESD_Lm5ESE_iEESJ_NS8_INS9_ISB_SC_Lm4ESE_iEESI_SC_Lm5ESE_iEEiiiiiiiii
; %bb.0:
	s_load_dwordx4 s[8:11], s[4:5], 0x70
	s_add_u32 s0, s4, 0x60
	s_addc_u32 s1, s5, 0
	s_load_dwordx4 s[16:19], s[4:5], 0x3c
	s_load_dwordx4 s[20:23], s[4:5], 0xc
	s_waitcnt lgkmcnt(0)
	v_cvt_f32_u32_e32 v1, s10
	v_cvt_f32_u32_e32 v2, s9
	s_sub_i32 s2, 0, s10
	v_rcp_iflag_f32_e32 v1, v1
	v_rcp_iflag_f32_e32 v2, v2
	v_mul_f32_e32 v1, 0x4f7ffffe, v1
	v_cvt_u32_f32_e32 v1, v1
	v_mul_f32_e32 v2, 0x4f7ffffe, v2
	v_cvt_u32_f32_e32 v2, v2
	v_readfirstlane_b32 s3, v1
	s_mul_i32 s2, s2, s3
	s_mul_hi_u32 s2, s3, s2
	s_add_i32 s3, s3, s2
	s_mul_hi_u32 s2, s6, s3
	s_mul_i32 s3, s2, s10
	s_sub_i32 s3, s6, s3
	s_add_i32 s12, s2, 1
	s_sub_i32 s13, s3, s10
	s_cmp_ge_u32 s3, s10
	s_cselect_b32 s2, s12, s2
	s_cselect_b32 s3, s13, s3
	s_add_i32 s12, s2, 1
	s_cmp_ge_u32 s3, s10
	v_cvt_f32_u32_e32 v1, s8
	v_readfirstlane_b32 s7, v2
	s_cselect_b32 s2, s12, s2
	s_sub_i32 s3, 0, s9
	s_mul_i32 s3, s3, s7
	s_mul_hi_u32 s3, s7, s3
	s_add_i32 s7, s7, s3
	v_rcp_iflag_f32_e32 v1, v1
	s_mul_hi_u32 s3, s2, s7
	s_mul_i32 s7, s3, s9
	s_sub_i32 s7, s2, s7
	s_add_i32 s12, s3, 1
	s_sub_i32 s13, s7, s9
	v_mul_f32_e32 v1, 0x4f7ffffe, v1
	s_cmp_ge_u32 s7, s9
	v_cvt_u32_f32_e32 v1, v1
	s_cselect_b32 s3, s12, s3
	s_cselect_b32 s7, s13, s7
	s_add_i32 s12, s3, 1
	s_cmp_ge_u32 s7, s9
	s_cselect_b32 s3, s12, s3
	s_sub_i32 s7, 0, s8
	v_readfirstlane_b32 s12, v1
	s_mul_i32 s7, s7, s12
	s_mul_hi_u32 s7, s12, s7
	s_add_i32 s12, s12, s7
	s_mul_hi_u32 s7, s3, s12
	s_mul_i32 s12, s7, s8
	s_sub_i32 s12, s3, s12
	s_add_i32 s13, s7, 1
	s_sub_i32 s14, s12, s8
	s_cmp_ge_u32 s12, s8
	s_cselect_b32 s7, s13, s7
	s_cselect_b32 s12, s14, s12
	s_add_i32 s13, s7, 1
	s_cmp_ge_u32 s12, s8
	s_cselect_b32 s33, s13, s7
	s_abs_i32 s7, s16
	v_cvt_f32_u32_e32 v1, s7
	s_sub_i32 s14, 0, s7
	s_abs_i32 s13, s20
	s_xor_b32 s12, s20, s16
	v_rcp_iflag_f32_e32 v1, v1
	s_ashr_i32 s12, s12, 31
	v_mul_f32_e32 v1, 0x4f7ffffe, v1
	v_cvt_u32_f32_e32 v1, v1
	v_readfirstlane_b32 s15, v1
	s_mul_i32 s14, s14, s15
	s_mul_hi_u32 s14, s15, s14
	s_add_i32 s15, s15, s14
	s_mul_hi_u32 s14, s13, s15
	s_mul_i32 s15, s14, s7
	s_sub_i32 s13, s13, s15
	s_add_i32 s15, s14, 1
	s_sub_i32 s16, s13, s7
	s_cmp_ge_u32 s13, s7
	s_cselect_b32 s14, s15, s14
	s_cselect_b32 s13, s16, s13
	s_add_i32 s15, s14, 1
	s_cmp_ge_u32 s13, s7
	s_cselect_b32 s7, s15, s14
	s_xor_b32 s7, s7, s12
	s_sub_i32 s25, s7, s12
	s_abs_i32 s24, s25
	v_cvt_f32_u32_e32 v1, s24
	s_load_dword s7, s[4:5], 0x68
	v_rcp_iflag_f32_e32 v1, v1
	s_waitcnt lgkmcnt(0)
	s_cmp_ge_i32 s33, s7
	v_mul_f32_e32 v1, 0x4f7ffffe, v1
	v_cvt_u32_f32_e32 v1, v1
	v_readfirstlane_b32 s26, v1
	s_cbranch_scc1 .LBB38_28
; %bb.1:
	s_load_dwordx2 s[34:35], s[0:1], 0x0
	s_load_dwordx4 s[12:15], s[0:1], 0x24
	s_mul_i32 s0, s2, s10
	s_sub_i32 s10, s6, s0
	s_mul_i32 s0, s3, s9
	s_sub_i32 s16, s2, s0
	s_load_dword s0, s[4:5], 0xc4
	s_load_dword s45, s[4:5], 0x38
	s_mul_i32 s1, s33, s8
	v_lshrrev_b32_e32 v1, 6, v0
	s_sub_i32 s20, s3, s1
	s_waitcnt lgkmcnt(0)
	s_and_b32 s44, s0, 0xffff
	s_mul_i32 s45, s45, s21
	v_cmp_gt_i32_e32 vcc, s45, v1
	v_mov_b32_e32 v2, 0
	s_and_saveexec_b64 s[6:7], vcc
	s_cbranch_execz .LBB38_23
; %bb.2:
	s_sub_i32 s3, 0, s24
	s_mul_i32 s3, s3, s26
	s_mul_hi_u32 s3, s26, s3
	s_abs_i32 s2, s33
	s_add_i32 s26, s26, s3
	s_ashr_i32 s0, s33, 31
	s_ashr_i32 s1, s25, 31
	s_mul_hi_u32 s3, s2, s26
	s_xor_b32 s25, s0, s1
	s_mul_i32 s0, s3, s24
	s_sub_i32 s0, s2, s0
	s_lshr_b32 s46, s44, 6
	s_add_i32 s1, s3, 1
	s_sub_i32 s2, s0, s24
	s_cmp_ge_u32 s0, s24
	s_cselect_b32 s1, s1, s3
	s_cselect_b32 s0, s2, s0
	s_add_i32 s2, s1, 1
	s_cmp_ge_u32 s0, s24
	s_cselect_b32 s24, s2, s1
	s_abs_i32 s26, s21
	v_cvt_f32_u32_e32 v3, s26
	s_xor_b32 s24, s24, s25
	s_sub_i32 s42, s24, s25
	s_sub_i32 s24, 0, s26
	v_rcp_iflag_f32_e32 v3, v3
	s_load_dwordx4 s[0:3], s[4:5], 0x9c
	s_load_dwordx2 s[8:9], s[4:5], 0xac
	s_ashr_i32 s28, s21, 31
	v_and_b32_e32 v2, 63, v0
	v_mul_f32_e32 v3, 0x4f7ffffe, v3
	v_cvt_u32_f32_e32 v3, v3
	s_waitcnt lgkmcnt(0)
	s_mul_i32 s3, s20, s3
	v_mov_b32_e32 v7, 0
	v_lshlrev_b32_e32 v11, 1, v2
	v_mul_lo_u32 v4, s24, v3
	v_mul_hi_u32 v4, v3, v4
	v_add_u32_e32 v3, v3, v4
	v_mul_hi_u32 v3, v1, v3
	v_mul_lo_u32 v4, v3, s26
	v_sub_u32_e32 v4, v1, v4
	v_add_u32_e32 v5, 1, v3
	v_cmp_le_u32_e32 vcc, s26, v4
	v_cndmask_b32_e32 v3, v3, v5, vcc
	v_subrev_u32_e32 v5, s26, v4
	v_cndmask_b32_e32 v4, v4, v5, vcc
	v_add_u32_e32 v5, 1, v3
	v_cmp_le_u32_e32 vcc, s26, v4
	s_load_dwordx2 s[36:37], s[4:5], 0x0
	s_load_dwordx4 s[24:27], s[4:5], 0x1c
	v_cndmask_b32_e32 v3, v3, v5, vcc
	v_xor_b32_e32 v3, s28, v3
	v_subrev_u32_e32 v5, s28, v3
	s_load_dwordx2 s[40:41], s[4:5], 0x30
	s_load_dwordx4 s[28:31], s[4:5], 0x4c
	s_waitcnt lgkmcnt(0)
	s_mul_i32 s38, s25, s33
	s_ashr_i32 s39, s38, 31
	s_sub_i32 s27, s3, s0
	s_lshl_b64 s[4:5], s[38:39], 1
	s_add_u32 s25, s36, s4
	s_mul_i32 s4, s29, s42
	s_addc_u32 s31, s37, s5
	s_ashr_i32 s5, s4, 31
	s_lshl_b64 s[4:5], s[4:5], 1
	s_add_u32 s29, s40, s4
	s_addc_u32 s47, s41, s5
	s_abs_i32 s0, s23
	v_cvt_f32_u32_e32 v3, s0
	s_mul_i32 s3, s10, s9
	s_sub_i32 s48, s3, s2
	s_mul_i32 s2, s16, s8
	v_rcp_iflag_f32_e32 v3, v3
	v_mul_lo_u32 v4, v5, s21
	s_sub_i32 s49, s2, s1
	s_sub_i32 s2, 0, s0
	v_mul_f32_e32 v3, 0x4f7ffffe, v3
	v_cvt_u32_f32_e32 v3, v3
	v_sub_u32_e32 v6, v1, v4
	s_ashr_i32 s1, s23, 31
	s_mov_b64 s[8:9], 0
	v_mul_lo_u32 v4, s2, v3
	v_mul_hi_u32 v4, v3, v4
	v_add_u32_e32 v3, v3, v4
	v_mul_hi_u32 v3, v2, v3
	v_mul_lo_u32 v4, v3, s0
	v_sub_u32_e32 v4, v2, v4
	v_add_u32_e32 v8, 1, v3
	v_cmp_le_u32_e32 vcc, s0, v4
	v_cndmask_b32_e32 v3, v3, v8, vcc
	v_subrev_u32_e32 v8, s0, v4
	v_cndmask_b32_e32 v4, v4, v8, vcc
	v_add_u32_e32 v8, 1, v3
	v_cmp_le_u32_e32 vcc, s0, v4
	v_cndmask_b32_e32 v3, v3, v8, vcc
	v_xor_b32_e32 v3, s1, v3
	v_subrev_u32_e32 v8, s1, v3
	v_mul_lo_u32 v3, v8, s23
	v_cmp_gt_i32_e64 s[0:1], s22, v8
	v_sub_u32_e32 v9, v2, v3
	v_mov_b32_e32 v10, 0
	s_branch .LBB38_6
.LBB38_3:                               ;   in Loop: Header=BB38_6 Depth=1
	s_or_b64 exec, exec, s[40:41]
.LBB38_4:                               ;   in Loop: Header=BB38_6 Depth=1
	s_or_b64 exec, exec, s[38:39]
.LBB38_5:                               ;   in Loop: Header=BB38_6 Depth=1
	s_or_b64 exec, exec, s[36:37]
	v_add_u32_e32 v1, s46, v1
	v_cmp_le_i32_e32 vcc, s45, v1
	s_or_b64 s[8:9], vcc, s[8:9]
	v_add_u32_e32 v6, s46, v6
	s_andn2_b64 exec, exec, s[8:9]
	s_cbranch_execz .LBB38_22
.LBB38_6:                               ; =>This Loop Header: Depth=1
                                        ;     Child Loop BB38_8 Depth 2
                                        ;     Child Loop BB38_14 Depth 2
                                        ;       Child Loop BB38_20 Depth 3
	v_cmp_le_i32_e32 vcc, s21, v6
	s_and_saveexec_b64 s[2:3], vcc
	s_cbranch_execz .LBB38_10
; %bb.7:                                ;   in Loop: Header=BB38_6 Depth=1
	s_mov_b64 s[4:5], 0
.LBB38_8:                               ;   Parent Loop BB38_6 Depth=1
                                        ; =>  This Inner Loop Header: Depth=2
	v_subrev_u32_e32 v6, s21, v6
	v_cmp_gt_i32_e32 vcc, s21, v6
	s_or_b64 s[4:5], vcc, s[4:5]
	v_add_u32_e32 v5, 1, v5
	s_andn2_b64 exec, exec, s[4:5]
	s_cbranch_execnz .LBB38_8
; %bb.9:                                ;   in Loop: Header=BB38_6 Depth=1
	s_or_b64 exec, exec, s[4:5]
.LBB38_10:                              ;   in Loop: Header=BB38_6 Depth=1
	s_or_b64 exec, exec, s[2:3]
	v_mul_lo_u32 v2, v6, s15
	v_add_u32_e32 v2, s27, v2
	v_cmp_lt_i32_e32 vcc, -1, v2
	v_cmp_gt_i32_e64 s[2:3], s17, v2
	s_and_b64 s[2:3], vcc, s[2:3]
	s_and_saveexec_b64 s[36:37], s[2:3]
	s_cbranch_execz .LBB38_5
; %bb.11:                               ;   in Loop: Header=BB38_6 Depth=1
	s_and_saveexec_b64 s[38:39], s[0:1]
	s_cbranch_execz .LBB38_4
; %bb.12:                               ;   in Loop: Header=BB38_6 Depth=1
	v_mul_lo_u32 v12, s28, v5
	v_ashrrev_i32_e32 v13, 31, v12
	v_lshlrev_b64 v[12:13], 1, v[12:13]
	v_mov_b32_e32 v3, s47
	v_add_co_u32_e32 v4, vcc, s29, v12
	v_mul_lo_u32 v2, s30, v2
	v_addc_co_u32_e32 v13, vcc, v3, v13, vcc
	v_ashrrev_i32_e32 v3, 31, v2
	v_lshlrev_b64 v[2:3], 1, v[2:3]
	v_add_co_u32_e32 v12, vcc, v4, v2
	v_mul_lo_u32 v2, s24, v5
	v_addc_co_u32_e32 v13, vcc, v13, v3, vcc
	v_ashrrev_i32_e32 v3, 31, v2
	v_lshlrev_b64 v[2:3], 1, v[2:3]
	v_mov_b32_e32 v4, s31
	v_add_co_u32_e32 v14, vcc, s25, v2
	v_mul_lo_u32 v2, s26, v6
	v_addc_co_u32_e32 v4, vcc, v4, v3, vcc
	v_ashrrev_i32_e32 v3, 31, v2
	v_lshlrev_b64 v[2:3], 1, v[2:3]
	v_add_co_u32_e32 v2, vcc, v14, v2
	v_addc_co_u32_e32 v3, vcc, v4, v3, vcc
	v_add_co_u32_e32 v2, vcc, v2, v11
	v_addc_co_u32_e32 v3, vcc, 0, v3, vcc
	s_mov_b64 s[40:41], 0
	v_mov_b32_e32 v14, v9
	v_mov_b32_e32 v15, v8
	s_branch .LBB38_14
.LBB38_13:                              ;   in Loop: Header=BB38_14 Depth=2
	s_or_b64 exec, exec, s[2:3]
	v_add_co_u32_e32 v2, vcc, 0x80, v2
	v_addc_co_u32_e32 v3, vcc, 0, v3, vcc
	v_cmp_le_i32_e32 vcc, s22, v15
	s_or_b64 s[40:41], vcc, s[40:41]
	s_waitcnt vmcnt(0)
	v_fma_mix_f32 v10, v17, v16, v10 op_sel_hi:[0,1,0]
	s_andn2_b64 exec, exec, s[40:41]
	s_cbranch_execz .LBB38_3
.LBB38_14:                              ;   Parent Loop BB38_6 Depth=1
                                        ; =>  This Loop Header: Depth=2
                                        ;       Child Loop BB38_20 Depth 3
	global_load_ushort v16, v[2:3], off
	v_add_u32_e32 v4, s48, v14
	v_cmp_lt_i32_e32 vcc, -1, v4
	v_mov_b32_e32 v17, 0
	s_and_saveexec_b64 s[42:43], vcc
	s_cbranch_execz .LBB38_18
; %bb.15:                               ;   in Loop: Header=BB38_14 Depth=2
	v_add_u32_e32 v18, s49, v15
	v_cmp_gt_i32_e32 vcc, s19, v4
	v_cmp_gt_i32_e64 s[4:5], s18, v18
	v_cmp_lt_i32_e64 s[2:3], -1, v18
	s_and_b64 s[4:5], vcc, s[4:5]
	s_and_b64 s[4:5], s[4:5], s[2:3]
	v_mov_b32_e32 v17, 0
	s_and_saveexec_b64 s[2:3], s[4:5]
	s_cbranch_execz .LBB38_17
; %bb.16:                               ;   in Loop: Header=BB38_14 Depth=2
	v_mad_u64_u32 v[18:19], s[4:5], v18, s19, v[4:5]
	v_mov_b32_e32 v19, v7
	v_lshlrev_b64 v[18:19], 1, v[18:19]
	v_add_co_u32_e32 v18, vcc, v12, v18
	v_addc_co_u32_e32 v19, vcc, v13, v19, vcc
	global_load_ushort v4, v[18:19], off
	s_waitcnt vmcnt(0)
	v_cvt_f32_f16_e32 v17, v4
.LBB38_17:                              ;   in Loop: Header=BB38_14 Depth=2
	s_or_b64 exec, exec, s[2:3]
.LBB38_18:                              ;   in Loop: Header=BB38_14 Depth=2
	s_or_b64 exec, exec, s[42:43]
	v_add_u32_e32 v14, 64, v14
	v_cmp_le_i32_e32 vcc, s23, v14
	s_and_saveexec_b64 s[2:3], vcc
	s_cbranch_execz .LBB38_13
; %bb.19:                               ;   in Loop: Header=BB38_14 Depth=2
	s_mov_b64 s[4:5], 0
.LBB38_20:                              ;   Parent Loop BB38_6 Depth=1
                                        ;     Parent Loop BB38_14 Depth=2
                                        ; =>    This Inner Loop Header: Depth=3
	v_subrev_u32_e32 v14, s23, v14
	v_cmp_gt_i32_e32 vcc, s23, v14
	s_or_b64 s[4:5], vcc, s[4:5]
	v_add_u32_e32 v15, 1, v15
	s_andn2_b64 exec, exec, s[4:5]
	s_cbranch_execnz .LBB38_20
; %bb.21:                               ;   in Loop: Header=BB38_14 Depth=2
	s_or_b64 exec, exec, s[4:5]
	s_branch .LBB38_13
.LBB38_22:
	s_or_b64 exec, exec, s[8:9]
	v_cvt_f16_f32_e32 v2, v10
.LBB38_23:
	s_or_b64 exec, exec, s[6:7]
	s_bcnt1_i32_b32 s0, s44
	v_lshl_add_u32 v1, v0, 1, 0
	s_cmp_lg_u32 s0, 1
	s_mov_b64 s[0:1], -1
	ds_write_b16 v1, v2
	s_waitcnt lgkmcnt(0)
	s_barrier
	s_cbranch_scc1 .LBB38_32
; %bb.24:
	s_andn2_b64 vcc, exec, s[0:1]
	s_cbranch_vccnz .LBB38_28
.LBB38_25:
	s_cmp_lt_u32 s44, 2
	s_cbranch_scc0 .LBB38_30
.LBB38_26:
	v_cmp_eq_u32_e32 vcc, 0, v0
	s_and_saveexec_b64 s[0:1], vcc
	s_cbranch_execz .LBB38_28
; %bb.27:
	s_mul_i32 s0, s11, s33
	s_ashr_i32 s1, s0, 31
	s_lshl_b64 s[0:1], s[0:1], 1
	s_add_u32 s2, s34, s0
	s_mul_i32 s0, s12, s20
	s_addc_u32 s3, s35, s1
	s_ashr_i32 s1, s0, 31
	s_lshl_b64 s[0:1], s[0:1], 1
	s_add_u32 s2, s2, s0
	s_mul_i32 s0, s13, s16
	s_addc_u32 s3, s3, s1
	s_ashr_i32 s1, s0, 31
	s_lshl_b64 s[0:1], s[0:1], 1
	v_mov_b32_e32 v0, 0
	s_add_u32 s2, s2, s0
	s_mul_i32 s0, s14, s10
	ds_read_u16 v1, v0
	s_addc_u32 s3, s3, s1
	s_ashr_i32 s1, s0, 31
	s_lshl_b64 s[0:1], s[0:1], 1
	s_add_u32 s0, s2, s0
	s_addc_u32 s1, s3, s1
	s_waitcnt lgkmcnt(0)
	global_store_short v0, v1, s[0:1]
.LBB38_28:
	s_endpgm
.LBB38_29:                              ;   in Loop: Header=BB38_30 Depth=1
	s_or_b64 exec, exec, s[0:1]
	s_cmp_lt_u32 s44, 4
	s_mov_b32 s44, s2
	s_waitcnt lgkmcnt(0)
	s_barrier
	s_cbranch_scc1 .LBB38_26
.LBB38_30:                              ; =>This Inner Loop Header: Depth=1
	s_lshr_b32 s2, s44, 1
	v_cmp_gt_u32_e32 vcc, s2, v0
	s_and_saveexec_b64 s[0:1], vcc
	s_cbranch_execz .LBB38_29
; %bb.31:                               ;   in Loop: Header=BB38_30 Depth=1
	v_lshl_add_u32 v2, s2, 1, v1
	ds_read_u16 v2, v2
	ds_read_u16 v3, v1
	s_waitcnt lgkmcnt(0)
	v_add_f16_e32 v2, v2, v3
	ds_write_b16 v1, v2
	s_branch .LBB38_29
.LBB38_32:
	s_trap 2
	; divergent unreachable
	s_cbranch_execz .LBB38_25
	s_branch .LBB38_28
	.section	.rodata,"a",@progbits
	.p2align	6, 0x0
	.amdhsa_kernel _ZN2at6native12_GLOBAL__N_144conv_depthwise3d_cuda_backward_weight_kernelIN3c104HalfEfLi1ELi1EEEvN5torch10headeronly6detail27GenericPackedTensorAccessorINS7_14TensorAccessorINS3_8ArrayRefIlEEKT_Lm4ENS6_16DefaultPtrTraitsEiEENS_6detail16IndexBoundsCheckILm5EiEESD_Lm5ESE_iEESJ_NS8_INS9_ISB_SC_Lm4ESE_iEESI_SC_Lm5ESE_iEEiiiiiiiii
		.amdhsa_group_segment_fixed_size 0
		.amdhsa_private_segment_fixed_size 0
		.amdhsa_kernarg_size 440
		.amdhsa_user_sgpr_count 6
		.amdhsa_user_sgpr_private_segment_buffer 1
		.amdhsa_user_sgpr_dispatch_ptr 0
		.amdhsa_user_sgpr_queue_ptr 0
		.amdhsa_user_sgpr_kernarg_segment_ptr 1
		.amdhsa_user_sgpr_dispatch_id 0
		.amdhsa_user_sgpr_flat_scratch_init 0
		.amdhsa_user_sgpr_kernarg_preload_length 0
		.amdhsa_user_sgpr_kernarg_preload_offset 0
		.amdhsa_user_sgpr_private_segment_size 0
		.amdhsa_uses_dynamic_stack 0
		.amdhsa_system_sgpr_private_segment_wavefront_offset 0
		.amdhsa_system_sgpr_workgroup_id_x 1
		.amdhsa_system_sgpr_workgroup_id_y 0
		.amdhsa_system_sgpr_workgroup_id_z 0
		.amdhsa_system_sgpr_workgroup_info 0
		.amdhsa_system_vgpr_workitem_id 0
		.amdhsa_next_free_vgpr 20
		.amdhsa_next_free_sgpr 50
		.amdhsa_accum_offset 20
		.amdhsa_reserve_vcc 1
		.amdhsa_reserve_flat_scratch 0
		.amdhsa_float_round_mode_32 0
		.amdhsa_float_round_mode_16_64 0
		.amdhsa_float_denorm_mode_32 3
		.amdhsa_float_denorm_mode_16_64 3
		.amdhsa_dx10_clamp 1
		.amdhsa_ieee_mode 1
		.amdhsa_fp16_overflow 0
		.amdhsa_tg_split 0
		.amdhsa_exception_fp_ieee_invalid_op 0
		.amdhsa_exception_fp_denorm_src 0
		.amdhsa_exception_fp_ieee_div_zero 0
		.amdhsa_exception_fp_ieee_overflow 0
		.amdhsa_exception_fp_ieee_underflow 0
		.amdhsa_exception_fp_ieee_inexact 0
		.amdhsa_exception_int_div_zero 0
	.end_amdhsa_kernel
	.section	.text._ZN2at6native12_GLOBAL__N_144conv_depthwise3d_cuda_backward_weight_kernelIN3c104HalfEfLi1ELi1EEEvN5torch10headeronly6detail27GenericPackedTensorAccessorINS7_14TensorAccessorINS3_8ArrayRefIlEEKT_Lm4ENS6_16DefaultPtrTraitsEiEENS_6detail16IndexBoundsCheckILm5EiEESD_Lm5ESE_iEESJ_NS8_INS9_ISB_SC_Lm4ESE_iEESI_SC_Lm5ESE_iEEiiiiiiiii,"axG",@progbits,_ZN2at6native12_GLOBAL__N_144conv_depthwise3d_cuda_backward_weight_kernelIN3c104HalfEfLi1ELi1EEEvN5torch10headeronly6detail27GenericPackedTensorAccessorINS7_14TensorAccessorINS3_8ArrayRefIlEEKT_Lm4ENS6_16DefaultPtrTraitsEiEENS_6detail16IndexBoundsCheckILm5EiEESD_Lm5ESE_iEESJ_NS8_INS9_ISB_SC_Lm4ESE_iEESI_SC_Lm5ESE_iEEiiiiiiiii,comdat
.Lfunc_end38:
	.size	_ZN2at6native12_GLOBAL__N_144conv_depthwise3d_cuda_backward_weight_kernelIN3c104HalfEfLi1ELi1EEEvN5torch10headeronly6detail27GenericPackedTensorAccessorINS7_14TensorAccessorINS3_8ArrayRefIlEEKT_Lm4ENS6_16DefaultPtrTraitsEiEENS_6detail16IndexBoundsCheckILm5EiEESD_Lm5ESE_iEESJ_NS8_INS9_ISB_SC_Lm4ESE_iEESI_SC_Lm5ESE_iEEiiiiiiiii, .Lfunc_end38-_ZN2at6native12_GLOBAL__N_144conv_depthwise3d_cuda_backward_weight_kernelIN3c104HalfEfLi1ELi1EEEvN5torch10headeronly6detail27GenericPackedTensorAccessorINS7_14TensorAccessorINS3_8ArrayRefIlEEKT_Lm4ENS6_16DefaultPtrTraitsEiEENS_6detail16IndexBoundsCheckILm5EiEESD_Lm5ESE_iEESJ_NS8_INS9_ISB_SC_Lm4ESE_iEESI_SC_Lm5ESE_iEEiiiiiiiii
                                        ; -- End function
	.section	.AMDGPU.csdata,"",@progbits
; Kernel info:
; codeLenInByte = 1804
; NumSgprs: 54
; NumVgprs: 20
; NumAgprs: 0
; TotalNumVgprs: 20
; ScratchSize: 0
; MemoryBound: 0
; FloatMode: 240
; IeeeMode: 1
; LDSByteSize: 0 bytes/workgroup (compile time only)
; SGPRBlocks: 6
; VGPRBlocks: 2
; NumSGPRsForWavesPerEU: 54
; NumVGPRsForWavesPerEU: 20
; AccumOffset: 20
; Occupancy: 8
; WaveLimiterHint : 1
; COMPUTE_PGM_RSRC2:SCRATCH_EN: 0
; COMPUTE_PGM_RSRC2:USER_SGPR: 6
; COMPUTE_PGM_RSRC2:TRAP_HANDLER: 0
; COMPUTE_PGM_RSRC2:TGID_X_EN: 1
; COMPUTE_PGM_RSRC2:TGID_Y_EN: 0
; COMPUTE_PGM_RSRC2:TGID_Z_EN: 0
; COMPUTE_PGM_RSRC2:TIDIG_COMP_CNT: 0
; COMPUTE_PGM_RSRC3_GFX90A:ACCUM_OFFSET: 4
; COMPUTE_PGM_RSRC3_GFX90A:TG_SPLIT: 0
	.section	.text._ZN2at6native12_GLOBAL__N_144conv_depthwise3d_cuda_backward_weight_kernelIN3c104HalfEfLi2ELi2EEEvN5torch10headeronly6detail27GenericPackedTensorAccessorINS7_14TensorAccessorINS3_8ArrayRefIlEEKT_Lm4ENS6_16DefaultPtrTraitsEiEENS_6detail16IndexBoundsCheckILm5EiEESD_Lm5ESE_iEESJ_NS8_INS9_ISB_SC_Lm4ESE_iEESI_SC_Lm5ESE_iEEiiiiiiiii,"axG",@progbits,_ZN2at6native12_GLOBAL__N_144conv_depthwise3d_cuda_backward_weight_kernelIN3c104HalfEfLi2ELi2EEEvN5torch10headeronly6detail27GenericPackedTensorAccessorINS7_14TensorAccessorINS3_8ArrayRefIlEEKT_Lm4ENS6_16DefaultPtrTraitsEiEENS_6detail16IndexBoundsCheckILm5EiEESD_Lm5ESE_iEESJ_NS8_INS9_ISB_SC_Lm4ESE_iEESI_SC_Lm5ESE_iEEiiiiiiiii,comdat
	.globl	_ZN2at6native12_GLOBAL__N_144conv_depthwise3d_cuda_backward_weight_kernelIN3c104HalfEfLi2ELi2EEEvN5torch10headeronly6detail27GenericPackedTensorAccessorINS7_14TensorAccessorINS3_8ArrayRefIlEEKT_Lm4ENS6_16DefaultPtrTraitsEiEENS_6detail16IndexBoundsCheckILm5EiEESD_Lm5ESE_iEESJ_NS8_INS9_ISB_SC_Lm4ESE_iEESI_SC_Lm5ESE_iEEiiiiiiiii ; -- Begin function _ZN2at6native12_GLOBAL__N_144conv_depthwise3d_cuda_backward_weight_kernelIN3c104HalfEfLi2ELi2EEEvN5torch10headeronly6detail27GenericPackedTensorAccessorINS7_14TensorAccessorINS3_8ArrayRefIlEEKT_Lm4ENS6_16DefaultPtrTraitsEiEENS_6detail16IndexBoundsCheckILm5EiEESD_Lm5ESE_iEESJ_NS8_INS9_ISB_SC_Lm4ESE_iEESI_SC_Lm5ESE_iEEiiiiiiiii
	.p2align	8
	.type	_ZN2at6native12_GLOBAL__N_144conv_depthwise3d_cuda_backward_weight_kernelIN3c104HalfEfLi2ELi2EEEvN5torch10headeronly6detail27GenericPackedTensorAccessorINS7_14TensorAccessorINS3_8ArrayRefIlEEKT_Lm4ENS6_16DefaultPtrTraitsEiEENS_6detail16IndexBoundsCheckILm5EiEESD_Lm5ESE_iEESJ_NS8_INS9_ISB_SC_Lm4ESE_iEESI_SC_Lm5ESE_iEEiiiiiiiii,@function
_ZN2at6native12_GLOBAL__N_144conv_depthwise3d_cuda_backward_weight_kernelIN3c104HalfEfLi2ELi2EEEvN5torch10headeronly6detail27GenericPackedTensorAccessorINS7_14TensorAccessorINS3_8ArrayRefIlEEKT_Lm4ENS6_16DefaultPtrTraitsEiEENS_6detail16IndexBoundsCheckILm5EiEESD_Lm5ESE_iEESJ_NS8_INS9_ISB_SC_Lm4ESE_iEESI_SC_Lm5ESE_iEEiiiiiiiii: ; @_ZN2at6native12_GLOBAL__N_144conv_depthwise3d_cuda_backward_weight_kernelIN3c104HalfEfLi2ELi2EEEvN5torch10headeronly6detail27GenericPackedTensorAccessorINS7_14TensorAccessorINS3_8ArrayRefIlEEKT_Lm4ENS6_16DefaultPtrTraitsEiEENS_6detail16IndexBoundsCheckILm5EiEESD_Lm5ESE_iEESJ_NS8_INS9_ISB_SC_Lm4ESE_iEESI_SC_Lm5ESE_iEEiiiiiiiii
; %bb.0:
	s_load_dwordx4 s[8:11], s[4:5], 0x70
	s_add_u32 s0, s4, 0x60
	s_addc_u32 s1, s5, 0
	s_load_dwordx4 s[16:19], s[4:5], 0x3c
	s_load_dwordx4 s[20:23], s[4:5], 0xc
	s_waitcnt lgkmcnt(0)
	v_cvt_f32_u32_e32 v1, s10
	v_cvt_f32_u32_e32 v2, s9
	s_sub_i32 s2, 0, s10
	v_rcp_iflag_f32_e32 v1, v1
	v_rcp_iflag_f32_e32 v2, v2
	v_mul_f32_e32 v1, 0x4f7ffffe, v1
	v_cvt_u32_f32_e32 v1, v1
	v_mul_f32_e32 v2, 0x4f7ffffe, v2
	v_cvt_u32_f32_e32 v2, v2
	v_readfirstlane_b32 s3, v1
	s_mul_i32 s2, s2, s3
	s_mul_hi_u32 s2, s3, s2
	s_add_i32 s3, s3, s2
	s_mul_hi_u32 s2, s6, s3
	s_mul_i32 s3, s2, s10
	s_sub_i32 s3, s6, s3
	s_add_i32 s12, s2, 1
	s_sub_i32 s13, s3, s10
	s_cmp_ge_u32 s3, s10
	s_cselect_b32 s2, s12, s2
	s_cselect_b32 s3, s13, s3
	s_add_i32 s12, s2, 1
	s_cmp_ge_u32 s3, s10
	v_cvt_f32_u32_e32 v1, s8
	v_readfirstlane_b32 s7, v2
	s_cselect_b32 s2, s12, s2
	s_sub_i32 s3, 0, s9
	s_mul_i32 s3, s3, s7
	s_mul_hi_u32 s3, s7, s3
	s_add_i32 s7, s7, s3
	v_rcp_iflag_f32_e32 v1, v1
	s_mul_hi_u32 s3, s2, s7
	s_mul_i32 s7, s3, s9
	s_sub_i32 s7, s2, s7
	s_add_i32 s12, s3, 1
	s_sub_i32 s13, s7, s9
	v_mul_f32_e32 v1, 0x4f7ffffe, v1
	s_cmp_ge_u32 s7, s9
	v_cvt_u32_f32_e32 v1, v1
	s_cselect_b32 s3, s12, s3
	s_cselect_b32 s7, s13, s7
	s_add_i32 s12, s3, 1
	s_cmp_ge_u32 s7, s9
	s_cselect_b32 s3, s12, s3
	s_sub_i32 s7, 0, s8
	v_readfirstlane_b32 s12, v1
	s_mul_i32 s7, s7, s12
	s_mul_hi_u32 s7, s12, s7
	s_add_i32 s12, s12, s7
	s_mul_hi_u32 s7, s3, s12
	s_mul_i32 s12, s7, s8
	s_sub_i32 s12, s3, s12
	s_add_i32 s13, s7, 1
	s_sub_i32 s14, s12, s8
	s_cmp_ge_u32 s12, s8
	s_cselect_b32 s7, s13, s7
	s_cselect_b32 s12, s14, s12
	s_add_i32 s13, s7, 1
	s_cmp_ge_u32 s12, s8
	s_cselect_b32 s33, s13, s7
	s_abs_i32 s7, s16
	v_cvt_f32_u32_e32 v1, s7
	s_sub_i32 s14, 0, s7
	s_abs_i32 s13, s20
	s_xor_b32 s12, s20, s16
	v_rcp_iflag_f32_e32 v1, v1
	s_ashr_i32 s12, s12, 31
	v_mul_f32_e32 v1, 0x4f7ffffe, v1
	v_cvt_u32_f32_e32 v1, v1
	v_readfirstlane_b32 s15, v1
	s_mul_i32 s14, s14, s15
	s_mul_hi_u32 s14, s15, s14
	s_add_i32 s15, s15, s14
	s_mul_hi_u32 s14, s13, s15
	s_mul_i32 s15, s14, s7
	s_sub_i32 s13, s13, s15
	s_add_i32 s15, s14, 1
	s_sub_i32 s16, s13, s7
	s_cmp_ge_u32 s13, s7
	s_cselect_b32 s14, s15, s14
	s_cselect_b32 s13, s16, s13
	s_add_i32 s15, s14, 1
	s_cmp_ge_u32 s13, s7
	s_cselect_b32 s7, s15, s14
	s_xor_b32 s7, s7, s12
	s_sub_i32 s25, s7, s12
	s_abs_i32 s24, s25
	v_cvt_f32_u32_e32 v1, s24
	s_load_dword s7, s[4:5], 0x68
	v_rcp_iflag_f32_e32 v1, v1
	s_waitcnt lgkmcnt(0)
	s_cmp_ge_i32 s33, s7
	v_mul_f32_e32 v1, 0x4f7ffffe, v1
	v_cvt_u32_f32_e32 v1, v1
	v_readfirstlane_b32 s26, v1
	s_cbranch_scc1 .LBB39_28
; %bb.1:
	s_load_dwordx2 s[34:35], s[0:1], 0x0
	s_load_dwordx4 s[12:15], s[0:1], 0x24
	s_mul_i32 s0, s2, s10
	s_sub_i32 s10, s6, s0
	s_mul_i32 s0, s3, s9
	s_sub_i32 s16, s2, s0
	s_load_dword s0, s[4:5], 0xc4
	s_load_dword s45, s[4:5], 0x38
	s_mul_i32 s1, s33, s8
	v_lshrrev_b32_e32 v1, 6, v0
	s_sub_i32 s20, s3, s1
	s_waitcnt lgkmcnt(0)
	s_and_b32 s44, s0, 0xffff
	s_mul_i32 s45, s45, s21
	v_cmp_gt_i32_e32 vcc, s45, v1
	v_mov_b32_e32 v2, 0
	s_and_saveexec_b64 s[6:7], vcc
	s_cbranch_execz .LBB39_23
; %bb.2:
	s_sub_i32 s3, 0, s24
	s_mul_i32 s3, s3, s26
	s_mul_hi_u32 s3, s26, s3
	s_abs_i32 s2, s33
	s_add_i32 s26, s26, s3
	s_ashr_i32 s0, s33, 31
	s_ashr_i32 s1, s25, 31
	s_mul_hi_u32 s3, s2, s26
	s_xor_b32 s25, s0, s1
	s_mul_i32 s0, s3, s24
	s_sub_i32 s0, s2, s0
	s_lshr_b32 s46, s44, 6
	s_add_i32 s1, s3, 1
	s_sub_i32 s2, s0, s24
	s_cmp_ge_u32 s0, s24
	s_cselect_b32 s1, s1, s3
	s_cselect_b32 s0, s2, s0
	s_add_i32 s2, s1, 1
	s_cmp_ge_u32 s0, s24
	s_cselect_b32 s24, s2, s1
	s_abs_i32 s26, s21
	v_cvt_f32_u32_e32 v3, s26
	s_xor_b32 s24, s24, s25
	s_sub_i32 s42, s24, s25
	s_sub_i32 s24, 0, s26
	v_rcp_iflag_f32_e32 v3, v3
	s_load_dwordx4 s[0:3], s[4:5], 0x9c
	s_load_dwordx2 s[8:9], s[4:5], 0xac
	s_ashr_i32 s28, s21, 31
	v_and_b32_e32 v2, 63, v0
	v_mul_f32_e32 v3, 0x4f7ffffe, v3
	v_cvt_u32_f32_e32 v3, v3
	s_waitcnt lgkmcnt(0)
	s_mul_i32 s3, s20, s3
	v_mov_b32_e32 v7, 0
	v_lshlrev_b32_e32 v11, 1, v2
	v_mul_lo_u32 v4, s24, v3
	v_mul_hi_u32 v4, v3, v4
	v_add_u32_e32 v3, v3, v4
	v_mul_hi_u32 v3, v1, v3
	v_mul_lo_u32 v4, v3, s26
	v_sub_u32_e32 v4, v1, v4
	v_add_u32_e32 v5, 1, v3
	v_cmp_le_u32_e32 vcc, s26, v4
	v_cndmask_b32_e32 v3, v3, v5, vcc
	v_subrev_u32_e32 v5, s26, v4
	v_cndmask_b32_e32 v4, v4, v5, vcc
	v_add_u32_e32 v5, 1, v3
	v_cmp_le_u32_e32 vcc, s26, v4
	s_load_dwordx2 s[36:37], s[4:5], 0x0
	s_load_dwordx4 s[24:27], s[4:5], 0x1c
	v_cndmask_b32_e32 v3, v3, v5, vcc
	v_xor_b32_e32 v3, s28, v3
	v_subrev_u32_e32 v5, s28, v3
	s_load_dwordx2 s[40:41], s[4:5], 0x30
	s_load_dwordx4 s[28:31], s[4:5], 0x4c
	s_waitcnt lgkmcnt(0)
	s_mul_i32 s38, s25, s33
	s_ashr_i32 s39, s38, 31
	s_sub_i32 s27, s3, s0
	s_lshl_b64 s[4:5], s[38:39], 1
	s_add_u32 s25, s36, s4
	s_mul_i32 s4, s29, s42
	s_addc_u32 s31, s37, s5
	s_ashr_i32 s5, s4, 31
	s_lshl_b64 s[4:5], s[4:5], 1
	s_add_u32 s29, s40, s4
	s_addc_u32 s47, s41, s5
	s_abs_i32 s0, s23
	v_cvt_f32_u32_e32 v3, s0
	s_mul_i32 s3, s10, s9
	s_sub_i32 s48, s3, s2
	s_mul_i32 s2, s16, s8
	v_rcp_iflag_f32_e32 v3, v3
	v_mul_lo_u32 v4, v5, s21
	s_sub_i32 s49, s2, s1
	s_sub_i32 s2, 0, s0
	v_mul_f32_e32 v3, 0x4f7ffffe, v3
	v_cvt_u32_f32_e32 v3, v3
	v_sub_u32_e32 v6, v1, v4
	s_ashr_i32 s1, s23, 31
	s_mov_b64 s[8:9], 0
	v_mul_lo_u32 v4, s2, v3
	v_mul_hi_u32 v4, v3, v4
	v_add_u32_e32 v3, v3, v4
	v_mul_hi_u32 v3, v2, v3
	v_mul_lo_u32 v4, v3, s0
	v_sub_u32_e32 v4, v2, v4
	v_add_u32_e32 v8, 1, v3
	v_cmp_le_u32_e32 vcc, s0, v4
	v_cndmask_b32_e32 v3, v3, v8, vcc
	v_subrev_u32_e32 v8, s0, v4
	v_cndmask_b32_e32 v4, v4, v8, vcc
	v_add_u32_e32 v8, 1, v3
	v_cmp_le_u32_e32 vcc, s0, v4
	v_cndmask_b32_e32 v3, v3, v8, vcc
	v_xor_b32_e32 v3, s1, v3
	v_subrev_u32_e32 v8, s1, v3
	v_mul_lo_u32 v3, v8, s23
	v_cmp_gt_i32_e64 s[0:1], s22, v8
	v_sub_u32_e32 v9, v2, v3
	v_mov_b32_e32 v10, 0
	s_branch .LBB39_6
.LBB39_3:                               ;   in Loop: Header=BB39_6 Depth=1
	s_or_b64 exec, exec, s[40:41]
.LBB39_4:                               ;   in Loop: Header=BB39_6 Depth=1
	s_or_b64 exec, exec, s[38:39]
.LBB39_5:                               ;   in Loop: Header=BB39_6 Depth=1
	s_or_b64 exec, exec, s[36:37]
	v_add_u32_e32 v1, s46, v1
	v_cmp_le_i32_e32 vcc, s45, v1
	s_or_b64 s[8:9], vcc, s[8:9]
	v_add_u32_e32 v6, s46, v6
	s_andn2_b64 exec, exec, s[8:9]
	s_cbranch_execz .LBB39_22
.LBB39_6:                               ; =>This Loop Header: Depth=1
                                        ;     Child Loop BB39_8 Depth 2
                                        ;     Child Loop BB39_14 Depth 2
                                        ;       Child Loop BB39_20 Depth 3
	v_cmp_le_i32_e32 vcc, s21, v6
	s_and_saveexec_b64 s[2:3], vcc
	s_cbranch_execz .LBB39_10
; %bb.7:                                ;   in Loop: Header=BB39_6 Depth=1
	s_mov_b64 s[4:5], 0
.LBB39_8:                               ;   Parent Loop BB39_6 Depth=1
                                        ; =>  This Inner Loop Header: Depth=2
	v_subrev_u32_e32 v6, s21, v6
	v_cmp_gt_i32_e32 vcc, s21, v6
	s_or_b64 s[4:5], vcc, s[4:5]
	v_add_u32_e32 v5, 1, v5
	s_andn2_b64 exec, exec, s[4:5]
	s_cbranch_execnz .LBB39_8
; %bb.9:                                ;   in Loop: Header=BB39_6 Depth=1
	s_or_b64 exec, exec, s[4:5]
.LBB39_10:                              ;   in Loop: Header=BB39_6 Depth=1
	s_or_b64 exec, exec, s[2:3]
	v_mul_lo_u32 v2, v6, s15
	v_add_u32_e32 v2, s27, v2
	v_cmp_lt_i32_e32 vcc, -1, v2
	v_cmp_gt_i32_e64 s[2:3], s17, v2
	s_and_b64 s[2:3], vcc, s[2:3]
	s_and_saveexec_b64 s[36:37], s[2:3]
	s_cbranch_execz .LBB39_5
; %bb.11:                               ;   in Loop: Header=BB39_6 Depth=1
	s_and_saveexec_b64 s[38:39], s[0:1]
	s_cbranch_execz .LBB39_4
; %bb.12:                               ;   in Loop: Header=BB39_6 Depth=1
	v_mul_lo_u32 v12, s28, v5
	v_ashrrev_i32_e32 v13, 31, v12
	v_lshlrev_b64 v[12:13], 1, v[12:13]
	v_mov_b32_e32 v3, s47
	v_add_co_u32_e32 v4, vcc, s29, v12
	v_mul_lo_u32 v2, s30, v2
	v_addc_co_u32_e32 v13, vcc, v3, v13, vcc
	v_ashrrev_i32_e32 v3, 31, v2
	v_lshlrev_b64 v[2:3], 1, v[2:3]
	v_add_co_u32_e32 v12, vcc, v4, v2
	v_mul_lo_u32 v2, s24, v5
	v_addc_co_u32_e32 v13, vcc, v13, v3, vcc
	v_ashrrev_i32_e32 v3, 31, v2
	v_lshlrev_b64 v[2:3], 1, v[2:3]
	v_mov_b32_e32 v4, s31
	v_add_co_u32_e32 v14, vcc, s25, v2
	v_mul_lo_u32 v2, s26, v6
	v_addc_co_u32_e32 v4, vcc, v4, v3, vcc
	v_ashrrev_i32_e32 v3, 31, v2
	v_lshlrev_b64 v[2:3], 1, v[2:3]
	v_add_co_u32_e32 v2, vcc, v14, v2
	v_addc_co_u32_e32 v3, vcc, v4, v3, vcc
	v_add_co_u32_e32 v2, vcc, v2, v11
	v_addc_co_u32_e32 v3, vcc, 0, v3, vcc
	s_mov_b64 s[40:41], 0
	v_mov_b32_e32 v14, v9
	v_mov_b32_e32 v15, v8
	s_branch .LBB39_14
.LBB39_13:                              ;   in Loop: Header=BB39_14 Depth=2
	s_or_b64 exec, exec, s[2:3]
	v_add_co_u32_e32 v2, vcc, 0x80, v2
	v_addc_co_u32_e32 v3, vcc, 0, v3, vcc
	v_cmp_le_i32_e32 vcc, s22, v15
	s_or_b64 s[40:41], vcc, s[40:41]
	s_waitcnt vmcnt(0)
	v_fma_mix_f32 v10, v17, v16, v10 op_sel_hi:[0,1,0]
	s_andn2_b64 exec, exec, s[40:41]
	s_cbranch_execz .LBB39_3
.LBB39_14:                              ;   Parent Loop BB39_6 Depth=1
                                        ; =>  This Loop Header: Depth=2
                                        ;       Child Loop BB39_20 Depth 3
	global_load_ushort v16, v[2:3], off
	v_lshl_add_u32 v4, v14, 1, s48
	v_cmp_lt_i32_e32 vcc, -1, v4
	v_mov_b32_e32 v17, 0
	s_and_saveexec_b64 s[42:43], vcc
	s_cbranch_execz .LBB39_18
; %bb.15:                               ;   in Loop: Header=BB39_14 Depth=2
	v_lshl_add_u32 v18, v15, 1, s49
	v_cmp_gt_i32_e32 vcc, s19, v4
	v_cmp_gt_i32_e64 s[4:5], s18, v18
	v_cmp_lt_i32_e64 s[2:3], -1, v18
	s_and_b64 s[4:5], vcc, s[4:5]
	s_and_b64 s[4:5], s[4:5], s[2:3]
	v_mov_b32_e32 v17, 0
	s_and_saveexec_b64 s[2:3], s[4:5]
	s_cbranch_execz .LBB39_17
; %bb.16:                               ;   in Loop: Header=BB39_14 Depth=2
	v_mad_u64_u32 v[18:19], s[4:5], v18, s19, v[4:5]
	v_mov_b32_e32 v19, v7
	v_lshlrev_b64 v[18:19], 1, v[18:19]
	v_add_co_u32_e32 v18, vcc, v12, v18
	v_addc_co_u32_e32 v19, vcc, v13, v19, vcc
	global_load_ushort v4, v[18:19], off
	s_waitcnt vmcnt(0)
	v_cvt_f32_f16_e32 v17, v4
.LBB39_17:                              ;   in Loop: Header=BB39_14 Depth=2
	s_or_b64 exec, exec, s[2:3]
.LBB39_18:                              ;   in Loop: Header=BB39_14 Depth=2
	s_or_b64 exec, exec, s[42:43]
	v_add_u32_e32 v14, 64, v14
	v_cmp_le_i32_e32 vcc, s23, v14
	s_and_saveexec_b64 s[2:3], vcc
	s_cbranch_execz .LBB39_13
; %bb.19:                               ;   in Loop: Header=BB39_14 Depth=2
	s_mov_b64 s[4:5], 0
.LBB39_20:                              ;   Parent Loop BB39_6 Depth=1
                                        ;     Parent Loop BB39_14 Depth=2
                                        ; =>    This Inner Loop Header: Depth=3
	v_subrev_u32_e32 v14, s23, v14
	v_cmp_gt_i32_e32 vcc, s23, v14
	s_or_b64 s[4:5], vcc, s[4:5]
	v_add_u32_e32 v15, 1, v15
	s_andn2_b64 exec, exec, s[4:5]
	s_cbranch_execnz .LBB39_20
; %bb.21:                               ;   in Loop: Header=BB39_14 Depth=2
	s_or_b64 exec, exec, s[4:5]
	s_branch .LBB39_13
.LBB39_22:
	s_or_b64 exec, exec, s[8:9]
	v_cvt_f16_f32_e32 v2, v10
.LBB39_23:
	s_or_b64 exec, exec, s[6:7]
	s_bcnt1_i32_b32 s0, s44
	v_lshl_add_u32 v1, v0, 1, 0
	s_cmp_lg_u32 s0, 1
	s_mov_b64 s[0:1], -1
	ds_write_b16 v1, v2
	s_waitcnt lgkmcnt(0)
	s_barrier
	s_cbranch_scc1 .LBB39_32
; %bb.24:
	s_andn2_b64 vcc, exec, s[0:1]
	s_cbranch_vccnz .LBB39_28
.LBB39_25:
	s_cmp_lt_u32 s44, 2
	s_cbranch_scc0 .LBB39_30
.LBB39_26:
	v_cmp_eq_u32_e32 vcc, 0, v0
	s_and_saveexec_b64 s[0:1], vcc
	s_cbranch_execz .LBB39_28
; %bb.27:
	s_mul_i32 s0, s11, s33
	s_ashr_i32 s1, s0, 31
	s_lshl_b64 s[0:1], s[0:1], 1
	s_add_u32 s2, s34, s0
	s_mul_i32 s0, s12, s20
	s_addc_u32 s3, s35, s1
	s_ashr_i32 s1, s0, 31
	s_lshl_b64 s[0:1], s[0:1], 1
	s_add_u32 s2, s2, s0
	s_mul_i32 s0, s13, s16
	s_addc_u32 s3, s3, s1
	s_ashr_i32 s1, s0, 31
	s_lshl_b64 s[0:1], s[0:1], 1
	v_mov_b32_e32 v0, 0
	s_add_u32 s2, s2, s0
	s_mul_i32 s0, s14, s10
	ds_read_u16 v1, v0
	s_addc_u32 s3, s3, s1
	s_ashr_i32 s1, s0, 31
	s_lshl_b64 s[0:1], s[0:1], 1
	s_add_u32 s0, s2, s0
	s_addc_u32 s1, s3, s1
	s_waitcnt lgkmcnt(0)
	global_store_short v0, v1, s[0:1]
.LBB39_28:
	s_endpgm
.LBB39_29:                              ;   in Loop: Header=BB39_30 Depth=1
	s_or_b64 exec, exec, s[0:1]
	s_cmp_lt_u32 s44, 4
	s_mov_b32 s44, s2
	s_waitcnt lgkmcnt(0)
	s_barrier
	s_cbranch_scc1 .LBB39_26
.LBB39_30:                              ; =>This Inner Loop Header: Depth=1
	s_lshr_b32 s2, s44, 1
	v_cmp_gt_u32_e32 vcc, s2, v0
	s_and_saveexec_b64 s[0:1], vcc
	s_cbranch_execz .LBB39_29
; %bb.31:                               ;   in Loop: Header=BB39_30 Depth=1
	v_lshl_add_u32 v2, s2, 1, v1
	ds_read_u16 v2, v2
	ds_read_u16 v3, v1
	s_waitcnt lgkmcnt(0)
	v_add_f16_e32 v2, v2, v3
	ds_write_b16 v1, v2
	s_branch .LBB39_29
.LBB39_32:
	s_trap 2
	; divergent unreachable
	s_cbranch_execz .LBB39_25
	s_branch .LBB39_28
	.section	.rodata,"a",@progbits
	.p2align	6, 0x0
	.amdhsa_kernel _ZN2at6native12_GLOBAL__N_144conv_depthwise3d_cuda_backward_weight_kernelIN3c104HalfEfLi2ELi2EEEvN5torch10headeronly6detail27GenericPackedTensorAccessorINS7_14TensorAccessorINS3_8ArrayRefIlEEKT_Lm4ENS6_16DefaultPtrTraitsEiEENS_6detail16IndexBoundsCheckILm5EiEESD_Lm5ESE_iEESJ_NS8_INS9_ISB_SC_Lm4ESE_iEESI_SC_Lm5ESE_iEEiiiiiiiii
		.amdhsa_group_segment_fixed_size 0
		.amdhsa_private_segment_fixed_size 0
		.amdhsa_kernarg_size 440
		.amdhsa_user_sgpr_count 6
		.amdhsa_user_sgpr_private_segment_buffer 1
		.amdhsa_user_sgpr_dispatch_ptr 0
		.amdhsa_user_sgpr_queue_ptr 0
		.amdhsa_user_sgpr_kernarg_segment_ptr 1
		.amdhsa_user_sgpr_dispatch_id 0
		.amdhsa_user_sgpr_flat_scratch_init 0
		.amdhsa_user_sgpr_kernarg_preload_length 0
		.amdhsa_user_sgpr_kernarg_preload_offset 0
		.amdhsa_user_sgpr_private_segment_size 0
		.amdhsa_uses_dynamic_stack 0
		.amdhsa_system_sgpr_private_segment_wavefront_offset 0
		.amdhsa_system_sgpr_workgroup_id_x 1
		.amdhsa_system_sgpr_workgroup_id_y 0
		.amdhsa_system_sgpr_workgroup_id_z 0
		.amdhsa_system_sgpr_workgroup_info 0
		.amdhsa_system_vgpr_workitem_id 0
		.amdhsa_next_free_vgpr 20
		.amdhsa_next_free_sgpr 50
		.amdhsa_accum_offset 20
		.amdhsa_reserve_vcc 1
		.amdhsa_reserve_flat_scratch 0
		.amdhsa_float_round_mode_32 0
		.amdhsa_float_round_mode_16_64 0
		.amdhsa_float_denorm_mode_32 3
		.amdhsa_float_denorm_mode_16_64 3
		.amdhsa_dx10_clamp 1
		.amdhsa_ieee_mode 1
		.amdhsa_fp16_overflow 0
		.amdhsa_tg_split 0
		.amdhsa_exception_fp_ieee_invalid_op 0
		.amdhsa_exception_fp_denorm_src 0
		.amdhsa_exception_fp_ieee_div_zero 0
		.amdhsa_exception_fp_ieee_overflow 0
		.amdhsa_exception_fp_ieee_underflow 0
		.amdhsa_exception_fp_ieee_inexact 0
		.amdhsa_exception_int_div_zero 0
	.end_amdhsa_kernel
	.section	.text._ZN2at6native12_GLOBAL__N_144conv_depthwise3d_cuda_backward_weight_kernelIN3c104HalfEfLi2ELi2EEEvN5torch10headeronly6detail27GenericPackedTensorAccessorINS7_14TensorAccessorINS3_8ArrayRefIlEEKT_Lm4ENS6_16DefaultPtrTraitsEiEENS_6detail16IndexBoundsCheckILm5EiEESD_Lm5ESE_iEESJ_NS8_INS9_ISB_SC_Lm4ESE_iEESI_SC_Lm5ESE_iEEiiiiiiiii,"axG",@progbits,_ZN2at6native12_GLOBAL__N_144conv_depthwise3d_cuda_backward_weight_kernelIN3c104HalfEfLi2ELi2EEEvN5torch10headeronly6detail27GenericPackedTensorAccessorINS7_14TensorAccessorINS3_8ArrayRefIlEEKT_Lm4ENS6_16DefaultPtrTraitsEiEENS_6detail16IndexBoundsCheckILm5EiEESD_Lm5ESE_iEESJ_NS8_INS9_ISB_SC_Lm4ESE_iEESI_SC_Lm5ESE_iEEiiiiiiiii,comdat
.Lfunc_end39:
	.size	_ZN2at6native12_GLOBAL__N_144conv_depthwise3d_cuda_backward_weight_kernelIN3c104HalfEfLi2ELi2EEEvN5torch10headeronly6detail27GenericPackedTensorAccessorINS7_14TensorAccessorINS3_8ArrayRefIlEEKT_Lm4ENS6_16DefaultPtrTraitsEiEENS_6detail16IndexBoundsCheckILm5EiEESD_Lm5ESE_iEESJ_NS8_INS9_ISB_SC_Lm4ESE_iEESI_SC_Lm5ESE_iEEiiiiiiiii, .Lfunc_end39-_ZN2at6native12_GLOBAL__N_144conv_depthwise3d_cuda_backward_weight_kernelIN3c104HalfEfLi2ELi2EEEvN5torch10headeronly6detail27GenericPackedTensorAccessorINS7_14TensorAccessorINS3_8ArrayRefIlEEKT_Lm4ENS6_16DefaultPtrTraitsEiEENS_6detail16IndexBoundsCheckILm5EiEESD_Lm5ESE_iEESJ_NS8_INS9_ISB_SC_Lm4ESE_iEESI_SC_Lm5ESE_iEEiiiiiiiii
                                        ; -- End function
	.section	.AMDGPU.csdata,"",@progbits
; Kernel info:
; codeLenInByte = 1812
; NumSgprs: 54
; NumVgprs: 20
; NumAgprs: 0
; TotalNumVgprs: 20
; ScratchSize: 0
; MemoryBound: 0
; FloatMode: 240
; IeeeMode: 1
; LDSByteSize: 0 bytes/workgroup (compile time only)
; SGPRBlocks: 6
; VGPRBlocks: 2
; NumSGPRsForWavesPerEU: 54
; NumVGPRsForWavesPerEU: 20
; AccumOffset: 20
; Occupancy: 8
; WaveLimiterHint : 1
; COMPUTE_PGM_RSRC2:SCRATCH_EN: 0
; COMPUTE_PGM_RSRC2:USER_SGPR: 6
; COMPUTE_PGM_RSRC2:TRAP_HANDLER: 0
; COMPUTE_PGM_RSRC2:TGID_X_EN: 1
; COMPUTE_PGM_RSRC2:TGID_Y_EN: 0
; COMPUTE_PGM_RSRC2:TGID_Z_EN: 0
; COMPUTE_PGM_RSRC2:TIDIG_COMP_CNT: 0
; COMPUTE_PGM_RSRC3_GFX90A:ACCUM_OFFSET: 4
; COMPUTE_PGM_RSRC3_GFX90A:TG_SPLIT: 0
	.section	.text._ZN2at6native12_GLOBAL__N_144conv_depthwise3d_cuda_backward_weight_kernelIN3c104HalfEfLin1ELin1EEEvN5torch10headeronly6detail27GenericPackedTensorAccessorINS7_14TensorAccessorINS3_8ArrayRefIlEEKT_Lm4ENS6_16DefaultPtrTraitsEiEENS_6detail16IndexBoundsCheckILm5EiEESD_Lm5ESE_iEESJ_NS8_INS9_ISB_SC_Lm4ESE_iEESI_SC_Lm5ESE_iEEiiiiiiiii,"axG",@progbits,_ZN2at6native12_GLOBAL__N_144conv_depthwise3d_cuda_backward_weight_kernelIN3c104HalfEfLin1ELin1EEEvN5torch10headeronly6detail27GenericPackedTensorAccessorINS7_14TensorAccessorINS3_8ArrayRefIlEEKT_Lm4ENS6_16DefaultPtrTraitsEiEENS_6detail16IndexBoundsCheckILm5EiEESD_Lm5ESE_iEESJ_NS8_INS9_ISB_SC_Lm4ESE_iEESI_SC_Lm5ESE_iEEiiiiiiiii,comdat
	.globl	_ZN2at6native12_GLOBAL__N_144conv_depthwise3d_cuda_backward_weight_kernelIN3c104HalfEfLin1ELin1EEEvN5torch10headeronly6detail27GenericPackedTensorAccessorINS7_14TensorAccessorINS3_8ArrayRefIlEEKT_Lm4ENS6_16DefaultPtrTraitsEiEENS_6detail16IndexBoundsCheckILm5EiEESD_Lm5ESE_iEESJ_NS8_INS9_ISB_SC_Lm4ESE_iEESI_SC_Lm5ESE_iEEiiiiiiiii ; -- Begin function _ZN2at6native12_GLOBAL__N_144conv_depthwise3d_cuda_backward_weight_kernelIN3c104HalfEfLin1ELin1EEEvN5torch10headeronly6detail27GenericPackedTensorAccessorINS7_14TensorAccessorINS3_8ArrayRefIlEEKT_Lm4ENS6_16DefaultPtrTraitsEiEENS_6detail16IndexBoundsCheckILm5EiEESD_Lm5ESE_iEESJ_NS8_INS9_ISB_SC_Lm4ESE_iEESI_SC_Lm5ESE_iEEiiiiiiiii
	.p2align	8
	.type	_ZN2at6native12_GLOBAL__N_144conv_depthwise3d_cuda_backward_weight_kernelIN3c104HalfEfLin1ELin1EEEvN5torch10headeronly6detail27GenericPackedTensorAccessorINS7_14TensorAccessorINS3_8ArrayRefIlEEKT_Lm4ENS6_16DefaultPtrTraitsEiEENS_6detail16IndexBoundsCheckILm5EiEESD_Lm5ESE_iEESJ_NS8_INS9_ISB_SC_Lm4ESE_iEESI_SC_Lm5ESE_iEEiiiiiiiii,@function
_ZN2at6native12_GLOBAL__N_144conv_depthwise3d_cuda_backward_weight_kernelIN3c104HalfEfLin1ELin1EEEvN5torch10headeronly6detail27GenericPackedTensorAccessorINS7_14TensorAccessorINS3_8ArrayRefIlEEKT_Lm4ENS6_16DefaultPtrTraitsEiEENS_6detail16IndexBoundsCheckILm5EiEESD_Lm5ESE_iEESJ_NS8_INS9_ISB_SC_Lm4ESE_iEESI_SC_Lm5ESE_iEEiiiiiiiii: ; @_ZN2at6native12_GLOBAL__N_144conv_depthwise3d_cuda_backward_weight_kernelIN3c104HalfEfLin1ELin1EEEvN5torch10headeronly6detail27GenericPackedTensorAccessorINS7_14TensorAccessorINS3_8ArrayRefIlEEKT_Lm4ENS6_16DefaultPtrTraitsEiEENS_6detail16IndexBoundsCheckILm5EiEESD_Lm5ESE_iEESJ_NS8_INS9_ISB_SC_Lm4ESE_iEESI_SC_Lm5ESE_iEEiiiiiiiii
; %bb.0:
	s_load_dwordx4 s[16:19], s[4:5], 0x70
	s_add_u32 s28, s4, 0x60
	s_addc_u32 s29, s5, 0
	s_load_dwordx4 s[20:23], s[4:5], 0x3c
	s_load_dwordx4 s[24:27], s[4:5], 0xc
	s_waitcnt lgkmcnt(0)
	v_cvt_f32_u32_e32 v1, s18
	v_cvt_f32_u32_e32 v2, s17
	s_sub_i32 s0, 0, s18
	v_rcp_iflag_f32_e32 v1, v1
	v_rcp_iflag_f32_e32 v2, v2
	v_mul_f32_e32 v1, 0x4f7ffffe, v1
	v_cvt_u32_f32_e32 v1, v1
	v_mul_f32_e32 v2, 0x4f7ffffe, v2
	v_cvt_u32_f32_e32 v2, v2
	v_readfirstlane_b32 s1, v1
	s_mul_i32 s0, s0, s1
	s_mul_hi_u32 s0, s1, s0
	s_add_i32 s1, s1, s0
	s_mul_hi_u32 s0, s6, s1
	s_mul_i32 s1, s0, s18
	s_sub_i32 s1, s6, s1
	s_add_i32 s3, s0, 1
	s_sub_i32 s7, s1, s18
	s_cmp_ge_u32 s1, s18
	s_cselect_b32 s0, s3, s0
	s_cselect_b32 s1, s7, s1
	s_add_i32 s3, s0, 1
	s_cmp_ge_u32 s1, s18
	v_cvt_f32_u32_e32 v1, s16
	v_readfirstlane_b32 s2, v2
	s_cselect_b32 s7, s3, s0
	s_sub_i32 s0, 0, s17
	s_mul_i32 s0, s0, s2
	s_mul_hi_u32 s0, s2, s0
	s_add_i32 s2, s2, s0
	v_rcp_iflag_f32_e32 v1, v1
	s_mul_hi_u32 s0, s7, s2
	s_mul_i32 s1, s0, s17
	s_sub_i32 s1, s7, s1
	s_add_i32 s2, s0, 1
	s_sub_i32 s3, s1, s17
	v_mul_f32_e32 v1, 0x4f7ffffe, v1
	s_cmp_ge_u32 s1, s17
	v_cvt_u32_f32_e32 v1, v1
	s_cselect_b32 s0, s2, s0
	s_cselect_b32 s1, s3, s1
	s_add_i32 s2, s0, 1
	s_cmp_ge_u32 s1, s17
	s_cselect_b32 s30, s2, s0
	s_sub_i32 s0, 0, s16
	v_readfirstlane_b32 s1, v1
	s_mul_i32 s0, s0, s1
	s_mul_hi_u32 s0, s1, s0
	s_add_i32 s1, s1, s0
	s_mul_hi_u32 s0, s30, s1
	s_mul_i32 s1, s0, s16
	s_sub_i32 s1, s30, s1
	s_add_i32 s2, s0, 1
	s_sub_i32 s3, s1, s16
	s_cmp_ge_u32 s1, s16
	s_cselect_b32 s0, s2, s0
	s_cselect_b32 s1, s3, s1
	s_add_i32 s2, s0, 1
	s_cmp_ge_u32 s1, s16
	s_cselect_b32 s33, s2, s0
	s_abs_i32 s0, s20
	v_cvt_f32_u32_e32 v1, s0
	s_sub_i32 s3, 0, s0
	s_abs_i32 s2, s24
	s_xor_b32 s1, s24, s20
	v_rcp_iflag_f32_e32 v1, v1
	s_ashr_i32 s1, s1, 31
	v_mul_f32_e32 v1, 0x4f7ffffe, v1
	v_cvt_u32_f32_e32 v1, v1
	v_readfirstlane_b32 s8, v1
	s_mul_i32 s3, s3, s8
	s_mul_hi_u32 s3, s8, s3
	s_add_i32 s8, s8, s3
	s_mul_hi_u32 s3, s2, s8
	s_mul_i32 s8, s3, s0
	s_sub_i32 s2, s2, s8
	s_add_i32 s8, s3, 1
	s_sub_i32 s9, s2, s0
	s_cmp_ge_u32 s2, s0
	s_cselect_b32 s3, s8, s3
	s_cselect_b32 s2, s9, s2
	s_add_i32 s8, s3, 1
	s_cmp_ge_u32 s2, s0
	s_cselect_b32 s0, s8, s3
	s_xor_b32 s0, s0, s1
	s_sub_i32 s36, s0, s1
	s_abs_i32 s31, s36
	v_cvt_f32_u32_e32 v1, s31
	s_load_dword s0, s[4:5], 0x68
	v_rcp_iflag_f32_e32 v1, v1
	s_waitcnt lgkmcnt(0)
	s_cmp_ge_i32 s33, s0
	v_mul_f32_e32 v1, 0x4f7ffffe, v1
	v_cvt_u32_f32_e32 v1, v1
	v_readfirstlane_b32 s37, v1
	s_cbranch_scc1 .LBB40_28
; %bb.1:
	s_mul_i32 s18, s7, s18
	s_sub_i32 s18, s6, s18
	s_mul_i32 s6, s30, s17
	s_load_dwordx4 s[0:3], s[28:29], 0x44
	s_load_dwordx2 s[34:35], s[28:29], 0x0
	s_load_dwordx8 s[8:15], s[28:29], 0x24
	s_sub_i32 s20, s7, s6
	s_load_dword s6, s[4:5], 0xc4
	s_load_dword s47, s[4:5], 0x38
	s_mul_i32 s7, s33, s16
	v_lshrrev_b32_e32 v1, 6, v0
	s_sub_i32 s24, s30, s7
	s_waitcnt lgkmcnt(0)
	s_and_b32 s46, s6, 0xffff
	s_mul_i32 s47, s47, s25
	v_cmp_gt_i32_e32 vcc, s47, v1
	v_mov_b32_e32 v2, 0
	s_and_saveexec_b64 s[6:7], vcc
	s_cbranch_execz .LBB40_23
; %bb.2:
	s_sub_i32 s29, 0, s31
	s_mul_i32 s29, s29, s37
	s_mul_hi_u32 s29, s37, s29
	s_abs_i32 s28, s33
	s_add_i32 s37, s37, s29
	s_ashr_i32 s16, s33, 31
	s_ashr_i32 s17, s36, 31
	s_mul_hi_u32 s29, s28, s37
	s_xor_b32 s16, s16, s17
	s_mul_i32 s17, s29, s31
	s_sub_i32 s17, s28, s17
	s_lshr_b32 s48, s46, 6
	s_add_i32 s28, s29, 1
	s_sub_i32 s30, s17, s31
	s_cmp_ge_u32 s17, s31
	s_cselect_b32 s28, s28, s29
	s_cselect_b32 s17, s30, s17
	s_add_i32 s29, s28, 1
	s_cmp_ge_u32 s17, s31
	s_cselect_b32 s17, s29, s28
	s_abs_i32 s28, s25
	v_cvt_f32_u32_e32 v2, s28
	s_xor_b32 s17, s17, s16
	s_sub_i32 s44, s17, s16
	s_sub_i32 s16, 0, s28
	v_rcp_iflag_f32_e32 v3, v2
	s_ashr_i32 s36, s25, 31
	s_mul_i32 s1, s24, s1
	s_mul_i32 s3, s18, s3
	v_mul_f32_e32 v3, 0x4f7ffffe, v3
	v_cvt_u32_f32_e32 v3, v3
	v_and_b32_e32 v2, 63, v0
	v_mov_b32_e32 v7, 0
	v_lshlrev_b32_e32 v11, 1, v2
	v_mul_lo_u32 v4, s16, v3
	v_mul_hi_u32 v4, v3, v4
	v_add_u32_e32 v3, v3, v4
	v_mul_hi_u32 v3, v1, v3
	v_mul_lo_u32 v4, v3, s28
	v_sub_u32_e32 v4, v1, v4
	v_add_u32_e32 v5, 1, v3
	v_cmp_le_u32_e32 vcc, s28, v4
	v_cndmask_b32_e32 v3, v3, v5, vcc
	v_subrev_u32_e32 v5, s28, v4
	v_cndmask_b32_e32 v4, v4, v5, vcc
	v_add_u32_e32 v5, 1, v3
	v_cmp_le_u32_e32 vcc, s28, v4
	s_load_dwordx2 s[16:17], s[4:5], 0x0
	s_load_dwordx4 s[28:31], s[4:5], 0x1c
	v_cndmask_b32_e32 v3, v3, v5, vcc
	v_xor_b32_e32 v3, s36, v3
	v_subrev_u32_e32 v5, s36, v3
	s_load_dwordx2 s[42:43], s[4:5], 0x30
	s_load_dwordx4 s[36:39], s[4:5], 0x4c
	s_waitcnt lgkmcnt(0)
	s_mul_i32 s40, s29, s33
	s_ashr_i32 s41, s40, 31
	s_sub_i32 s31, s1, s14
	s_lshl_b64 s[4:5], s[40:41], 1
	s_add_u32 s29, s16, s4
	s_mul_i32 s4, s37, s44
	s_addc_u32 s39, s17, s5
	s_ashr_i32 s5, s4, 31
	s_lshl_b64 s[4:5], s[4:5], 1
	s_add_u32 s37, s42, s4
	s_addc_u32 s49, s43, s5
	s_abs_i32 s1, s27
	v_cvt_f32_u32_e32 v3, s1
	v_mul_lo_u32 v4, v5, s25
	s_sub_i32 s50, s3, s0
	s_mul_i32 s0, s20, s2
	v_rcp_iflag_f32_e32 v3, v3
	s_sub_i32 s2, 0, s1
	v_sub_u32_e32 v6, v1, v4
	s_sub_i32 s51, s0, s15
	v_mul_f32_e32 v3, 0x4f7ffffe, v3
	v_cvt_u32_f32_e32 v3, v3
	s_ashr_i32 s0, s27, 31
	s_mov_b64 s[14:15], 0
	v_mov_b32_e32 v10, 0
	v_mul_lo_u32 v4, s2, v3
	v_mul_hi_u32 v4, v3, v4
	v_add_u32_e32 v3, v3, v4
	v_mul_hi_u32 v3, v2, v3
	v_mul_lo_u32 v4, v3, s1
	v_sub_u32_e32 v4, v2, v4
	v_add_u32_e32 v8, 1, v3
	v_cmp_le_u32_e32 vcc, s1, v4
	v_cndmask_b32_e32 v3, v3, v8, vcc
	v_subrev_u32_e32 v8, s1, v4
	v_cndmask_b32_e32 v4, v4, v8, vcc
	v_add_u32_e32 v8, 1, v3
	v_cmp_le_u32_e32 vcc, s1, v4
	v_cndmask_b32_e32 v3, v3, v8, vcc
	v_xor_b32_e32 v3, s0, v3
	v_subrev_u32_e32 v8, s0, v3
	v_mul_lo_u32 v3, v8, s27
	v_cmp_gt_i32_e64 s[0:1], s26, v8
	v_sub_u32_e32 v9, v2, v3
	s_branch .LBB40_6
.LBB40_3:                               ;   in Loop: Header=BB40_6 Depth=1
	s_or_b64 exec, exec, s[42:43]
.LBB40_4:                               ;   in Loop: Header=BB40_6 Depth=1
	s_or_b64 exec, exec, s[40:41]
.LBB40_5:                               ;   in Loop: Header=BB40_6 Depth=1
	s_or_b64 exec, exec, s[16:17]
	v_add_u32_e32 v1, s48, v1
	v_cmp_le_i32_e32 vcc, s47, v1
	s_or_b64 s[14:15], vcc, s[14:15]
	v_add_u32_e32 v6, s48, v6
	s_andn2_b64 exec, exec, s[14:15]
	s_cbranch_execz .LBB40_22
.LBB40_6:                               ; =>This Loop Header: Depth=1
                                        ;     Child Loop BB40_8 Depth 2
                                        ;     Child Loop BB40_14 Depth 2
                                        ;       Child Loop BB40_20 Depth 3
	v_cmp_le_i32_e32 vcc, s25, v6
	s_and_saveexec_b64 s[2:3], vcc
	s_cbranch_execz .LBB40_10
; %bb.7:                                ;   in Loop: Header=BB40_6 Depth=1
	s_mov_b64 s[4:5], 0
.LBB40_8:                               ;   Parent Loop BB40_6 Depth=1
                                        ; =>  This Inner Loop Header: Depth=2
	v_subrev_u32_e32 v6, s25, v6
	v_cmp_gt_i32_e32 vcc, s25, v6
	s_or_b64 s[4:5], vcc, s[4:5]
	v_add_u32_e32 v5, 1, v5
	s_andn2_b64 exec, exec, s[4:5]
	s_cbranch_execnz .LBB40_8
; %bb.9:                                ;   in Loop: Header=BB40_6 Depth=1
	s_or_b64 exec, exec, s[4:5]
.LBB40_10:                              ;   in Loop: Header=BB40_6 Depth=1
	s_or_b64 exec, exec, s[2:3]
	v_mul_lo_u32 v2, v6, s11
	v_add_u32_e32 v2, s31, v2
	v_cmp_lt_i32_e32 vcc, -1, v2
	v_cmp_gt_i32_e64 s[2:3], s21, v2
	s_and_b64 s[2:3], vcc, s[2:3]
	s_and_saveexec_b64 s[16:17], s[2:3]
	s_cbranch_execz .LBB40_5
; %bb.11:                               ;   in Loop: Header=BB40_6 Depth=1
	s_and_saveexec_b64 s[40:41], s[0:1]
	s_cbranch_execz .LBB40_4
; %bb.12:                               ;   in Loop: Header=BB40_6 Depth=1
	v_mul_lo_u32 v12, s36, v5
	v_ashrrev_i32_e32 v13, 31, v12
	v_lshlrev_b64 v[12:13], 1, v[12:13]
	v_mov_b32_e32 v3, s49
	v_add_co_u32_e32 v4, vcc, s37, v12
	v_mul_lo_u32 v2, s38, v2
	v_addc_co_u32_e32 v13, vcc, v3, v13, vcc
	v_ashrrev_i32_e32 v3, 31, v2
	v_lshlrev_b64 v[2:3], 1, v[2:3]
	v_add_co_u32_e32 v12, vcc, v4, v2
	v_mul_lo_u32 v2, s28, v5
	v_addc_co_u32_e32 v13, vcc, v13, v3, vcc
	v_ashrrev_i32_e32 v3, 31, v2
	v_lshlrev_b64 v[2:3], 1, v[2:3]
	v_mov_b32_e32 v4, s39
	v_add_co_u32_e32 v14, vcc, s29, v2
	v_mul_lo_u32 v2, s30, v6
	v_addc_co_u32_e32 v4, vcc, v4, v3, vcc
	v_ashrrev_i32_e32 v3, 31, v2
	v_lshlrev_b64 v[2:3], 1, v[2:3]
	v_add_co_u32_e32 v2, vcc, v14, v2
	v_addc_co_u32_e32 v3, vcc, v4, v3, vcc
	v_add_co_u32_e32 v2, vcc, v2, v11
	v_addc_co_u32_e32 v3, vcc, 0, v3, vcc
	s_mov_b64 s[42:43], 0
	v_mov_b32_e32 v14, v9
	v_mov_b32_e32 v15, v8
	s_branch .LBB40_14
.LBB40_13:                              ;   in Loop: Header=BB40_14 Depth=2
	s_or_b64 exec, exec, s[2:3]
	v_add_co_u32_e32 v2, vcc, 0x80, v2
	v_addc_co_u32_e32 v3, vcc, 0, v3, vcc
	v_cmp_le_i32_e32 vcc, s26, v15
	s_or_b64 s[42:43], vcc, s[42:43]
	s_waitcnt vmcnt(0)
	v_fma_mix_f32 v10, v17, v16, v10 op_sel_hi:[0,1,0]
	s_andn2_b64 exec, exec, s[42:43]
	s_cbranch_execz .LBB40_3
.LBB40_14:                              ;   Parent Loop BB40_6 Depth=1
                                        ; =>  This Loop Header: Depth=2
                                        ;       Child Loop BB40_20 Depth 3
	global_load_ushort v16, v[2:3], off
	v_mul_lo_u32 v4, v14, s13
	v_add_u32_e32 v4, s50, v4
	v_cmp_lt_i32_e32 vcc, -1, v4
	v_mov_b32_e32 v17, 0
	s_and_saveexec_b64 s[44:45], vcc
	s_cbranch_execz .LBB40_18
; %bb.15:                               ;   in Loop: Header=BB40_14 Depth=2
	v_mul_lo_u32 v17, v15, s12
	v_add_u32_e32 v18, s51, v17
	v_cmp_gt_i32_e32 vcc, s23, v4
	v_cmp_gt_i32_e64 s[4:5], s22, v18
	v_cmp_lt_i32_e64 s[2:3], -1, v18
	s_and_b64 s[4:5], vcc, s[4:5]
	s_and_b64 s[4:5], s[4:5], s[2:3]
	v_mov_b32_e32 v17, 0
	s_and_saveexec_b64 s[2:3], s[4:5]
	s_cbranch_execz .LBB40_17
; %bb.16:                               ;   in Loop: Header=BB40_14 Depth=2
	v_mad_u64_u32 v[18:19], s[4:5], v18, s23, v[4:5]
	v_mov_b32_e32 v19, v7
	v_lshlrev_b64 v[18:19], 1, v[18:19]
	v_add_co_u32_e32 v18, vcc, v12, v18
	v_addc_co_u32_e32 v19, vcc, v13, v19, vcc
	global_load_ushort v4, v[18:19], off
	s_waitcnt vmcnt(0)
	v_cvt_f32_f16_e32 v17, v4
.LBB40_17:                              ;   in Loop: Header=BB40_14 Depth=2
	s_or_b64 exec, exec, s[2:3]
.LBB40_18:                              ;   in Loop: Header=BB40_14 Depth=2
	s_or_b64 exec, exec, s[44:45]
	v_add_u32_e32 v14, 64, v14
	v_cmp_le_i32_e32 vcc, s27, v14
	s_and_saveexec_b64 s[2:3], vcc
	s_cbranch_execz .LBB40_13
; %bb.19:                               ;   in Loop: Header=BB40_14 Depth=2
	s_mov_b64 s[4:5], 0
.LBB40_20:                              ;   Parent Loop BB40_6 Depth=1
                                        ;     Parent Loop BB40_14 Depth=2
                                        ; =>    This Inner Loop Header: Depth=3
	v_subrev_u32_e32 v14, s27, v14
	v_cmp_gt_i32_e32 vcc, s27, v14
	s_or_b64 s[4:5], vcc, s[4:5]
	v_add_u32_e32 v15, 1, v15
	s_andn2_b64 exec, exec, s[4:5]
	s_cbranch_execnz .LBB40_20
; %bb.21:                               ;   in Loop: Header=BB40_14 Depth=2
	s_or_b64 exec, exec, s[4:5]
	s_branch .LBB40_13
.LBB40_22:
	s_or_b64 exec, exec, s[14:15]
	v_cvt_f16_f32_e32 v2, v10
.LBB40_23:
	s_or_b64 exec, exec, s[6:7]
	s_bcnt1_i32_b32 s0, s46
	v_lshl_add_u32 v1, v0, 1, 0
	s_cmp_lg_u32 s0, 1
	s_mov_b64 s[0:1], -1
	ds_write_b16 v1, v2
	s_waitcnt lgkmcnt(0)
	s_barrier
	s_cbranch_scc1 .LBB40_32
; %bb.24:
	s_andn2_b64 vcc, exec, s[0:1]
	s_cbranch_vccnz .LBB40_28
.LBB40_25:
	s_cmp_lt_u32 s46, 2
	s_cbranch_scc0 .LBB40_30
.LBB40_26:
	v_cmp_eq_u32_e32 vcc, 0, v0
	s_and_saveexec_b64 s[0:1], vcc
	s_cbranch_execz .LBB40_28
; %bb.27:
	s_mul_i32 s0, s19, s33
	s_ashr_i32 s1, s0, 31
	s_lshl_b64 s[0:1], s[0:1], 1
	s_add_u32 s2, s34, s0
	s_mul_i32 s0, s8, s24
	s_addc_u32 s3, s35, s1
	s_ashr_i32 s1, s0, 31
	s_lshl_b64 s[0:1], s[0:1], 1
	s_add_u32 s2, s2, s0
	s_mul_i32 s0, s9, s20
	s_addc_u32 s3, s3, s1
	s_ashr_i32 s1, s0, 31
	s_lshl_b64 s[0:1], s[0:1], 1
	v_mov_b32_e32 v0, 0
	s_add_u32 s2, s2, s0
	s_mul_i32 s0, s10, s18
	ds_read_u16 v1, v0
	s_addc_u32 s3, s3, s1
	s_ashr_i32 s1, s0, 31
	s_lshl_b64 s[0:1], s[0:1], 1
	s_add_u32 s0, s2, s0
	s_addc_u32 s1, s3, s1
	s_waitcnt lgkmcnt(0)
	global_store_short v0, v1, s[0:1]
.LBB40_28:
	s_endpgm
.LBB40_29:                              ;   in Loop: Header=BB40_30 Depth=1
	s_or_b64 exec, exec, s[0:1]
	s_cmp_lt_u32 s46, 4
	s_mov_b32 s46, s2
	s_waitcnt lgkmcnt(0)
	s_barrier
	s_cbranch_scc1 .LBB40_26
.LBB40_30:                              ; =>This Inner Loop Header: Depth=1
	s_lshr_b32 s2, s46, 1
	v_cmp_gt_u32_e32 vcc, s2, v0
	s_and_saveexec_b64 s[0:1], vcc
	s_cbranch_execz .LBB40_29
; %bb.31:                               ;   in Loop: Header=BB40_30 Depth=1
	v_lshl_add_u32 v2, s2, 1, v1
	ds_read_u16 v2, v2
	ds_read_u16 v3, v1
	s_waitcnt lgkmcnt(0)
	v_add_f16_e32 v2, v2, v3
	ds_write_b16 v1, v2
	s_branch .LBB40_29
.LBB40_32:
	s_trap 2
	; divergent unreachable
	s_cbranch_execz .LBB40_25
	s_branch .LBB40_28
	.section	.rodata,"a",@progbits
	.p2align	6, 0x0
	.amdhsa_kernel _ZN2at6native12_GLOBAL__N_144conv_depthwise3d_cuda_backward_weight_kernelIN3c104HalfEfLin1ELin1EEEvN5torch10headeronly6detail27GenericPackedTensorAccessorINS7_14TensorAccessorINS3_8ArrayRefIlEEKT_Lm4ENS6_16DefaultPtrTraitsEiEENS_6detail16IndexBoundsCheckILm5EiEESD_Lm5ESE_iEESJ_NS8_INS9_ISB_SC_Lm4ESE_iEESI_SC_Lm5ESE_iEEiiiiiiiii
		.amdhsa_group_segment_fixed_size 0
		.amdhsa_private_segment_fixed_size 0
		.amdhsa_kernarg_size 440
		.amdhsa_user_sgpr_count 6
		.amdhsa_user_sgpr_private_segment_buffer 1
		.amdhsa_user_sgpr_dispatch_ptr 0
		.amdhsa_user_sgpr_queue_ptr 0
		.amdhsa_user_sgpr_kernarg_segment_ptr 1
		.amdhsa_user_sgpr_dispatch_id 0
		.amdhsa_user_sgpr_flat_scratch_init 0
		.amdhsa_user_sgpr_kernarg_preload_length 0
		.amdhsa_user_sgpr_kernarg_preload_offset 0
		.amdhsa_user_sgpr_private_segment_size 0
		.amdhsa_uses_dynamic_stack 0
		.amdhsa_system_sgpr_private_segment_wavefront_offset 0
		.amdhsa_system_sgpr_workgroup_id_x 1
		.amdhsa_system_sgpr_workgroup_id_y 0
		.amdhsa_system_sgpr_workgroup_id_z 0
		.amdhsa_system_sgpr_workgroup_info 0
		.amdhsa_system_vgpr_workitem_id 0
		.amdhsa_next_free_vgpr 20
		.amdhsa_next_free_sgpr 52
		.amdhsa_accum_offset 20
		.amdhsa_reserve_vcc 1
		.amdhsa_reserve_flat_scratch 0
		.amdhsa_float_round_mode_32 0
		.amdhsa_float_round_mode_16_64 0
		.amdhsa_float_denorm_mode_32 3
		.amdhsa_float_denorm_mode_16_64 3
		.amdhsa_dx10_clamp 1
		.amdhsa_ieee_mode 1
		.amdhsa_fp16_overflow 0
		.amdhsa_tg_split 0
		.amdhsa_exception_fp_ieee_invalid_op 0
		.amdhsa_exception_fp_denorm_src 0
		.amdhsa_exception_fp_ieee_div_zero 0
		.amdhsa_exception_fp_ieee_overflow 0
		.amdhsa_exception_fp_ieee_underflow 0
		.amdhsa_exception_fp_ieee_inexact 0
		.amdhsa_exception_int_div_zero 0
	.end_amdhsa_kernel
	.section	.text._ZN2at6native12_GLOBAL__N_144conv_depthwise3d_cuda_backward_weight_kernelIN3c104HalfEfLin1ELin1EEEvN5torch10headeronly6detail27GenericPackedTensorAccessorINS7_14TensorAccessorINS3_8ArrayRefIlEEKT_Lm4ENS6_16DefaultPtrTraitsEiEENS_6detail16IndexBoundsCheckILm5EiEESD_Lm5ESE_iEESJ_NS8_INS9_ISB_SC_Lm4ESE_iEESI_SC_Lm5ESE_iEEiiiiiiiii,"axG",@progbits,_ZN2at6native12_GLOBAL__N_144conv_depthwise3d_cuda_backward_weight_kernelIN3c104HalfEfLin1ELin1EEEvN5torch10headeronly6detail27GenericPackedTensorAccessorINS7_14TensorAccessorINS3_8ArrayRefIlEEKT_Lm4ENS6_16DefaultPtrTraitsEiEENS_6detail16IndexBoundsCheckILm5EiEESD_Lm5ESE_iEESJ_NS8_INS9_ISB_SC_Lm4ESE_iEESI_SC_Lm5ESE_iEEiiiiiiiii,comdat
.Lfunc_end40:
	.size	_ZN2at6native12_GLOBAL__N_144conv_depthwise3d_cuda_backward_weight_kernelIN3c104HalfEfLin1ELin1EEEvN5torch10headeronly6detail27GenericPackedTensorAccessorINS7_14TensorAccessorINS3_8ArrayRefIlEEKT_Lm4ENS6_16DefaultPtrTraitsEiEENS_6detail16IndexBoundsCheckILm5EiEESD_Lm5ESE_iEESJ_NS8_INS9_ISB_SC_Lm4ESE_iEESI_SC_Lm5ESE_iEEiiiiiiiii, .Lfunc_end40-_ZN2at6native12_GLOBAL__N_144conv_depthwise3d_cuda_backward_weight_kernelIN3c104HalfEfLin1ELin1EEEvN5torch10headeronly6detail27GenericPackedTensorAccessorINS7_14TensorAccessorINS3_8ArrayRefIlEEKT_Lm4ENS6_16DefaultPtrTraitsEiEENS_6detail16IndexBoundsCheckILm5EiEESD_Lm5ESE_iEESJ_NS8_INS9_ISB_SC_Lm4ESE_iEESI_SC_Lm5ESE_iEEiiiiiiiii
                                        ; -- End function
	.section	.AMDGPU.csdata,"",@progbits
; Kernel info:
; codeLenInByte = 1808
; NumSgprs: 56
; NumVgprs: 20
; NumAgprs: 0
; TotalNumVgprs: 20
; ScratchSize: 0
; MemoryBound: 0
; FloatMode: 240
; IeeeMode: 1
; LDSByteSize: 0 bytes/workgroup (compile time only)
; SGPRBlocks: 6
; VGPRBlocks: 2
; NumSGPRsForWavesPerEU: 56
; NumVGPRsForWavesPerEU: 20
; AccumOffset: 20
; Occupancy: 8
; WaveLimiterHint : 1
; COMPUTE_PGM_RSRC2:SCRATCH_EN: 0
; COMPUTE_PGM_RSRC2:USER_SGPR: 6
; COMPUTE_PGM_RSRC2:TRAP_HANDLER: 0
; COMPUTE_PGM_RSRC2:TGID_X_EN: 1
; COMPUTE_PGM_RSRC2:TGID_Y_EN: 0
; COMPUTE_PGM_RSRC2:TGID_Z_EN: 0
; COMPUTE_PGM_RSRC2:TIDIG_COMP_CNT: 0
; COMPUTE_PGM_RSRC3_GFX90A:ACCUM_OFFSET: 4
; COMPUTE_PGM_RSRC3_GFX90A:TG_SPLIT: 0
	.section	.text._ZN2at6native12_GLOBAL__N_144conv_depthwise3d_cuda_backward_weight_kernelIN3c108BFloat16EfLi1ELi1EEEvN5torch10headeronly6detail27GenericPackedTensorAccessorINS7_14TensorAccessorINS3_8ArrayRefIlEEKT_Lm4ENS6_16DefaultPtrTraitsEiEENS_6detail16IndexBoundsCheckILm5EiEESD_Lm5ESE_iEESJ_NS8_INS9_ISB_SC_Lm4ESE_iEESI_SC_Lm5ESE_iEEiiiiiiiii,"axG",@progbits,_ZN2at6native12_GLOBAL__N_144conv_depthwise3d_cuda_backward_weight_kernelIN3c108BFloat16EfLi1ELi1EEEvN5torch10headeronly6detail27GenericPackedTensorAccessorINS7_14TensorAccessorINS3_8ArrayRefIlEEKT_Lm4ENS6_16DefaultPtrTraitsEiEENS_6detail16IndexBoundsCheckILm5EiEESD_Lm5ESE_iEESJ_NS8_INS9_ISB_SC_Lm4ESE_iEESI_SC_Lm5ESE_iEEiiiiiiiii,comdat
	.globl	_ZN2at6native12_GLOBAL__N_144conv_depthwise3d_cuda_backward_weight_kernelIN3c108BFloat16EfLi1ELi1EEEvN5torch10headeronly6detail27GenericPackedTensorAccessorINS7_14TensorAccessorINS3_8ArrayRefIlEEKT_Lm4ENS6_16DefaultPtrTraitsEiEENS_6detail16IndexBoundsCheckILm5EiEESD_Lm5ESE_iEESJ_NS8_INS9_ISB_SC_Lm4ESE_iEESI_SC_Lm5ESE_iEEiiiiiiiii ; -- Begin function _ZN2at6native12_GLOBAL__N_144conv_depthwise3d_cuda_backward_weight_kernelIN3c108BFloat16EfLi1ELi1EEEvN5torch10headeronly6detail27GenericPackedTensorAccessorINS7_14TensorAccessorINS3_8ArrayRefIlEEKT_Lm4ENS6_16DefaultPtrTraitsEiEENS_6detail16IndexBoundsCheckILm5EiEESD_Lm5ESE_iEESJ_NS8_INS9_ISB_SC_Lm4ESE_iEESI_SC_Lm5ESE_iEEiiiiiiiii
	.p2align	8
	.type	_ZN2at6native12_GLOBAL__N_144conv_depthwise3d_cuda_backward_weight_kernelIN3c108BFloat16EfLi1ELi1EEEvN5torch10headeronly6detail27GenericPackedTensorAccessorINS7_14TensorAccessorINS3_8ArrayRefIlEEKT_Lm4ENS6_16DefaultPtrTraitsEiEENS_6detail16IndexBoundsCheckILm5EiEESD_Lm5ESE_iEESJ_NS8_INS9_ISB_SC_Lm4ESE_iEESI_SC_Lm5ESE_iEEiiiiiiiii,@function
_ZN2at6native12_GLOBAL__N_144conv_depthwise3d_cuda_backward_weight_kernelIN3c108BFloat16EfLi1ELi1EEEvN5torch10headeronly6detail27GenericPackedTensorAccessorINS7_14TensorAccessorINS3_8ArrayRefIlEEKT_Lm4ENS6_16DefaultPtrTraitsEiEENS_6detail16IndexBoundsCheckILm5EiEESD_Lm5ESE_iEESJ_NS8_INS9_ISB_SC_Lm4ESE_iEESI_SC_Lm5ESE_iEEiiiiiiiii: ; @_ZN2at6native12_GLOBAL__N_144conv_depthwise3d_cuda_backward_weight_kernelIN3c108BFloat16EfLi1ELi1EEEvN5torch10headeronly6detail27GenericPackedTensorAccessorINS7_14TensorAccessorINS3_8ArrayRefIlEEKT_Lm4ENS6_16DefaultPtrTraitsEiEENS_6detail16IndexBoundsCheckILm5EiEESD_Lm5ESE_iEESJ_NS8_INS9_ISB_SC_Lm4ESE_iEESI_SC_Lm5ESE_iEEiiiiiiiii
; %bb.0:
	s_load_dwordx4 s[8:11], s[4:5], 0x70
	s_add_u32 s0, s4, 0x60
	s_addc_u32 s1, s5, 0
	s_load_dwordx4 s[16:19], s[4:5], 0x3c
	s_load_dwordx4 s[20:23], s[4:5], 0xc
	s_waitcnt lgkmcnt(0)
	v_cvt_f32_u32_e32 v1, s10
	v_cvt_f32_u32_e32 v2, s9
	s_sub_i32 s2, 0, s10
	v_rcp_iflag_f32_e32 v1, v1
	v_rcp_iflag_f32_e32 v2, v2
	v_mul_f32_e32 v1, 0x4f7ffffe, v1
	v_cvt_u32_f32_e32 v1, v1
	v_mul_f32_e32 v2, 0x4f7ffffe, v2
	v_cvt_u32_f32_e32 v2, v2
	v_readfirstlane_b32 s3, v1
	s_mul_i32 s2, s2, s3
	s_mul_hi_u32 s2, s3, s2
	s_add_i32 s3, s3, s2
	s_mul_hi_u32 s2, s6, s3
	s_mul_i32 s3, s2, s10
	s_sub_i32 s3, s6, s3
	s_add_i32 s12, s2, 1
	s_sub_i32 s13, s3, s10
	s_cmp_ge_u32 s3, s10
	s_cselect_b32 s2, s12, s2
	s_cselect_b32 s3, s13, s3
	s_add_i32 s12, s2, 1
	s_cmp_ge_u32 s3, s10
	v_cvt_f32_u32_e32 v1, s8
	v_readfirstlane_b32 s7, v2
	s_cselect_b32 s2, s12, s2
	s_sub_i32 s3, 0, s9
	s_mul_i32 s3, s3, s7
	s_mul_hi_u32 s3, s7, s3
	s_add_i32 s7, s7, s3
	v_rcp_iflag_f32_e32 v1, v1
	s_mul_hi_u32 s3, s2, s7
	s_mul_i32 s7, s3, s9
	s_sub_i32 s7, s2, s7
	s_add_i32 s12, s3, 1
	s_sub_i32 s13, s7, s9
	v_mul_f32_e32 v1, 0x4f7ffffe, v1
	s_cmp_ge_u32 s7, s9
	v_cvt_u32_f32_e32 v1, v1
	s_cselect_b32 s3, s12, s3
	s_cselect_b32 s7, s13, s7
	s_add_i32 s12, s3, 1
	s_cmp_ge_u32 s7, s9
	s_cselect_b32 s3, s12, s3
	s_sub_i32 s7, 0, s8
	v_readfirstlane_b32 s12, v1
	s_mul_i32 s7, s7, s12
	s_mul_hi_u32 s7, s12, s7
	s_add_i32 s12, s12, s7
	s_mul_hi_u32 s7, s3, s12
	s_mul_i32 s12, s7, s8
	s_sub_i32 s12, s3, s12
	s_add_i32 s13, s7, 1
	s_sub_i32 s14, s12, s8
	s_cmp_ge_u32 s12, s8
	s_cselect_b32 s7, s13, s7
	s_cselect_b32 s12, s14, s12
	s_add_i32 s13, s7, 1
	s_cmp_ge_u32 s12, s8
	s_cselect_b32 s33, s13, s7
	s_abs_i32 s7, s16
	v_cvt_f32_u32_e32 v1, s7
	s_sub_i32 s14, 0, s7
	s_abs_i32 s13, s20
	s_xor_b32 s12, s20, s16
	v_rcp_iflag_f32_e32 v1, v1
	s_ashr_i32 s12, s12, 31
	v_mul_f32_e32 v1, 0x4f7ffffe, v1
	v_cvt_u32_f32_e32 v1, v1
	v_readfirstlane_b32 s15, v1
	s_mul_i32 s14, s14, s15
	s_mul_hi_u32 s14, s15, s14
	s_add_i32 s15, s15, s14
	s_mul_hi_u32 s14, s13, s15
	s_mul_i32 s15, s14, s7
	s_sub_i32 s13, s13, s15
	s_add_i32 s15, s14, 1
	s_sub_i32 s16, s13, s7
	s_cmp_ge_u32 s13, s7
	s_cselect_b32 s14, s15, s14
	s_cselect_b32 s13, s16, s13
	s_add_i32 s15, s14, 1
	s_cmp_ge_u32 s13, s7
	s_cselect_b32 s7, s15, s14
	s_xor_b32 s7, s7, s12
	s_sub_i32 s25, s7, s12
	s_abs_i32 s24, s25
	v_cvt_f32_u32_e32 v1, s24
	s_load_dword s7, s[4:5], 0x68
	v_rcp_iflag_f32_e32 v1, v1
	s_waitcnt lgkmcnt(0)
	s_cmp_ge_i32 s33, s7
	v_mul_f32_e32 v1, 0x4f7ffffe, v1
	v_cvt_u32_f32_e32 v1, v1
	v_readfirstlane_b32 s26, v1
	s_cbranch_scc1 .LBB41_32
; %bb.1:
	s_load_dwordx2 s[34:35], s[0:1], 0x0
	s_load_dwordx4 s[12:15], s[0:1], 0x24
	s_mul_i32 s0, s2, s10
	s_sub_i32 s10, s6, s0
	s_mul_i32 s0, s3, s9
	s_sub_i32 s16, s2, s0
	s_load_dword s0, s[4:5], 0xc4
	s_load_dword s45, s[4:5], 0x38
	s_mul_i32 s1, s33, s8
	v_lshrrev_b32_e32 v1, 6, v0
	s_sub_i32 s20, s3, s1
	s_waitcnt lgkmcnt(0)
	s_and_b32 s44, s0, 0xffff
	s_mul_i32 s45, s45, s21
	v_cmp_gt_i32_e32 vcc, s45, v1
	v_mov_b32_e32 v8, 0
	s_and_saveexec_b64 s[6:7], vcc
	s_cbranch_execz .LBB41_23
; %bb.2:
	s_sub_i32 s3, 0, s24
	s_mul_i32 s3, s3, s26
	s_mul_hi_u32 s3, s26, s3
	s_abs_i32 s2, s33
	s_add_i32 s26, s26, s3
	s_ashr_i32 s0, s33, 31
	s_ashr_i32 s1, s25, 31
	s_mul_hi_u32 s3, s2, s26
	s_xor_b32 s25, s0, s1
	s_mul_i32 s0, s3, s24
	s_sub_i32 s0, s2, s0
	s_lshr_b32 s46, s44, 6
	s_add_i32 s1, s3, 1
	s_sub_i32 s2, s0, s24
	s_cmp_ge_u32 s0, s24
	s_cselect_b32 s1, s1, s3
	s_cselect_b32 s0, s2, s0
	s_add_i32 s2, s1, 1
	s_cmp_ge_u32 s0, s24
	s_cselect_b32 s24, s2, s1
	s_abs_i32 s26, s21
	v_cvt_f32_u32_e32 v3, s26
	s_xor_b32 s24, s24, s25
	s_sub_i32 s42, s24, s25
	s_sub_i32 s24, 0, s26
	v_rcp_iflag_f32_e32 v3, v3
	s_load_dwordx4 s[0:3], s[4:5], 0x9c
	s_load_dwordx2 s[8:9], s[4:5], 0xac
	s_ashr_i32 s28, s21, 31
	v_and_b32_e32 v2, 63, v0
	v_mul_f32_e32 v3, 0x4f7ffffe, v3
	v_cvt_u32_f32_e32 v3, v3
	s_waitcnt lgkmcnt(0)
	s_mul_i32 s3, s20, s3
	v_mov_b32_e32 v7, 0
	v_lshlrev_b32_e32 v11, 1, v2
	v_mul_lo_u32 v4, s24, v3
	v_mul_hi_u32 v4, v3, v4
	v_add_u32_e32 v3, v3, v4
	v_mul_hi_u32 v3, v1, v3
	v_mul_lo_u32 v4, v3, s26
	v_sub_u32_e32 v4, v1, v4
	v_add_u32_e32 v5, 1, v3
	v_cmp_le_u32_e32 vcc, s26, v4
	v_cndmask_b32_e32 v3, v3, v5, vcc
	v_subrev_u32_e32 v5, s26, v4
	v_cndmask_b32_e32 v4, v4, v5, vcc
	v_add_u32_e32 v5, 1, v3
	v_cmp_le_u32_e32 vcc, s26, v4
	s_load_dwordx2 s[36:37], s[4:5], 0x0
	s_load_dwordx4 s[24:27], s[4:5], 0x1c
	v_cndmask_b32_e32 v3, v3, v5, vcc
	v_xor_b32_e32 v3, s28, v3
	v_subrev_u32_e32 v5, s28, v3
	s_load_dwordx2 s[40:41], s[4:5], 0x30
	s_load_dwordx4 s[28:31], s[4:5], 0x4c
	s_waitcnt lgkmcnt(0)
	s_mul_i32 s38, s25, s33
	s_ashr_i32 s39, s38, 31
	s_sub_i32 s27, s3, s0
	s_lshl_b64 s[4:5], s[38:39], 1
	s_add_u32 s25, s36, s4
	s_mul_i32 s4, s29, s42
	s_addc_u32 s31, s37, s5
	s_ashr_i32 s5, s4, 31
	s_lshl_b64 s[4:5], s[4:5], 1
	s_add_u32 s29, s40, s4
	s_addc_u32 s47, s41, s5
	s_abs_i32 s0, s23
	v_cvt_f32_u32_e32 v3, s0
	s_mul_i32 s3, s10, s9
	s_sub_i32 s48, s3, s2
	s_mul_i32 s2, s16, s8
	v_rcp_iflag_f32_e32 v3, v3
	v_mul_lo_u32 v4, v5, s21
	s_sub_i32 s49, s2, s1
	s_sub_i32 s2, 0, s0
	v_mul_f32_e32 v3, 0x4f7ffffe, v3
	v_cvt_u32_f32_e32 v3, v3
	v_sub_u32_e32 v6, v1, v4
	s_ashr_i32 s1, s23, 31
	s_mov_b64 s[8:9], 0
	v_mul_lo_u32 v4, s2, v3
	v_mul_hi_u32 v4, v3, v4
	v_add_u32_e32 v3, v3, v4
	v_mul_hi_u32 v3, v2, v3
	v_mul_lo_u32 v4, v3, s0
	v_sub_u32_e32 v4, v2, v4
	v_add_u32_e32 v8, 1, v3
	v_cmp_le_u32_e32 vcc, s0, v4
	v_cndmask_b32_e32 v3, v3, v8, vcc
	v_subrev_u32_e32 v8, s0, v4
	v_cndmask_b32_e32 v4, v4, v8, vcc
	v_add_u32_e32 v8, 1, v3
	v_cmp_le_u32_e32 vcc, s0, v4
	v_cndmask_b32_e32 v3, v3, v8, vcc
	v_xor_b32_e32 v3, s1, v3
	v_subrev_u32_e32 v9, s1, v3
	v_mul_lo_u32 v3, v9, s23
	v_cmp_gt_i32_e64 s[0:1], s22, v9
	v_sub_u32_e32 v10, v2, v3
	v_mov_b32_e32 v8, 0
	s_branch .LBB41_6
.LBB41_3:                               ;   in Loop: Header=BB41_6 Depth=1
	s_or_b64 exec, exec, s[40:41]
.LBB41_4:                               ;   in Loop: Header=BB41_6 Depth=1
	s_or_b64 exec, exec, s[38:39]
.LBB41_5:                               ;   in Loop: Header=BB41_6 Depth=1
	s_or_b64 exec, exec, s[36:37]
	v_add_u32_e32 v1, s46, v1
	v_cmp_le_i32_e32 vcc, s45, v1
	s_or_b64 s[8:9], vcc, s[8:9]
	v_add_u32_e32 v6, s46, v6
	s_andn2_b64 exec, exec, s[8:9]
	s_cbranch_execz .LBB41_22
.LBB41_6:                               ; =>This Loop Header: Depth=1
                                        ;     Child Loop BB41_8 Depth 2
                                        ;     Child Loop BB41_14 Depth 2
                                        ;       Child Loop BB41_20 Depth 3
	v_cmp_le_i32_e32 vcc, s21, v6
	s_and_saveexec_b64 s[2:3], vcc
	s_cbranch_execz .LBB41_10
; %bb.7:                                ;   in Loop: Header=BB41_6 Depth=1
	s_mov_b64 s[4:5], 0
.LBB41_8:                               ;   Parent Loop BB41_6 Depth=1
                                        ; =>  This Inner Loop Header: Depth=2
	v_subrev_u32_e32 v6, s21, v6
	v_cmp_gt_i32_e32 vcc, s21, v6
	s_or_b64 s[4:5], vcc, s[4:5]
	v_add_u32_e32 v5, 1, v5
	s_andn2_b64 exec, exec, s[4:5]
	s_cbranch_execnz .LBB41_8
; %bb.9:                                ;   in Loop: Header=BB41_6 Depth=1
	s_or_b64 exec, exec, s[4:5]
.LBB41_10:                              ;   in Loop: Header=BB41_6 Depth=1
	s_or_b64 exec, exec, s[2:3]
	v_mul_lo_u32 v2, v6, s15
	v_add_u32_e32 v2, s27, v2
	v_cmp_lt_i32_e32 vcc, -1, v2
	v_cmp_gt_i32_e64 s[2:3], s17, v2
	s_and_b64 s[2:3], vcc, s[2:3]
	s_and_saveexec_b64 s[36:37], s[2:3]
	s_cbranch_execz .LBB41_5
; %bb.11:                               ;   in Loop: Header=BB41_6 Depth=1
	s_and_saveexec_b64 s[38:39], s[0:1]
	s_cbranch_execz .LBB41_4
; %bb.12:                               ;   in Loop: Header=BB41_6 Depth=1
	v_mul_lo_u32 v12, s28, v5
	v_ashrrev_i32_e32 v13, 31, v12
	v_lshlrev_b64 v[12:13], 1, v[12:13]
	v_mov_b32_e32 v3, s47
	v_add_co_u32_e32 v4, vcc, s29, v12
	v_mul_lo_u32 v2, s30, v2
	v_addc_co_u32_e32 v13, vcc, v3, v13, vcc
	v_ashrrev_i32_e32 v3, 31, v2
	v_lshlrev_b64 v[2:3], 1, v[2:3]
	v_add_co_u32_e32 v12, vcc, v4, v2
	v_mul_lo_u32 v2, s24, v5
	v_addc_co_u32_e32 v13, vcc, v13, v3, vcc
	v_ashrrev_i32_e32 v3, 31, v2
	v_lshlrev_b64 v[2:3], 1, v[2:3]
	v_mov_b32_e32 v4, s31
	v_add_co_u32_e32 v14, vcc, s25, v2
	v_mul_lo_u32 v2, s26, v6
	v_addc_co_u32_e32 v4, vcc, v4, v3, vcc
	v_ashrrev_i32_e32 v3, 31, v2
	v_lshlrev_b64 v[2:3], 1, v[2:3]
	v_add_co_u32_e32 v2, vcc, v14, v2
	v_addc_co_u32_e32 v3, vcc, v4, v3, vcc
	v_add_co_u32_e32 v2, vcc, v2, v11
	v_addc_co_u32_e32 v3, vcc, 0, v3, vcc
	s_mov_b64 s[40:41], 0
	v_mov_b32_e32 v14, v10
	v_mov_b32_e32 v15, v9
	s_branch .LBB41_14
.LBB41_13:                              ;   in Loop: Header=BB41_14 Depth=2
	s_or_b64 exec, exec, s[2:3]
	v_add_co_u32_e32 v2, vcc, 0x80, v2
	v_addc_co_u32_e32 v3, vcc, 0, v3, vcc
	s_waitcnt vmcnt(0)
	v_lshlrev_b32_e32 v4, 16, v16
	v_cmp_le_i32_e32 vcc, s22, v15
	s_or_b64 s[40:41], vcc, s[40:41]
	v_fmac_f32_e32 v8, v17, v4
	s_andn2_b64 exec, exec, s[40:41]
	s_cbranch_execz .LBB41_3
.LBB41_14:                              ;   Parent Loop BB41_6 Depth=1
                                        ; =>  This Loop Header: Depth=2
                                        ;       Child Loop BB41_20 Depth 3
	global_load_ushort v16, v[2:3], off
	v_add_u32_e32 v4, s48, v14
	v_cmp_lt_i32_e32 vcc, -1, v4
	v_mov_b32_e32 v17, 0
	s_and_saveexec_b64 s[42:43], vcc
	s_cbranch_execz .LBB41_18
; %bb.15:                               ;   in Loop: Header=BB41_14 Depth=2
	v_add_u32_e32 v18, s49, v15
	v_cmp_gt_i32_e32 vcc, s19, v4
	v_cmp_gt_i32_e64 s[4:5], s18, v18
	v_cmp_lt_i32_e64 s[2:3], -1, v18
	s_and_b64 s[4:5], vcc, s[4:5]
	s_and_b64 s[4:5], s[4:5], s[2:3]
	v_mov_b32_e32 v17, 0
	s_and_saveexec_b64 s[2:3], s[4:5]
	s_cbranch_execz .LBB41_17
; %bb.16:                               ;   in Loop: Header=BB41_14 Depth=2
	v_mad_u64_u32 v[18:19], s[4:5], v18, s19, v[4:5]
	v_mov_b32_e32 v19, v7
	v_lshlrev_b64 v[18:19], 1, v[18:19]
	v_add_co_u32_e32 v18, vcc, v12, v18
	v_addc_co_u32_e32 v19, vcc, v13, v19, vcc
	global_load_ushort v4, v[18:19], off
	s_waitcnt vmcnt(0)
	v_lshlrev_b32_e32 v17, 16, v4
.LBB41_17:                              ;   in Loop: Header=BB41_14 Depth=2
	s_or_b64 exec, exec, s[2:3]
.LBB41_18:                              ;   in Loop: Header=BB41_14 Depth=2
	s_or_b64 exec, exec, s[42:43]
	v_add_u32_e32 v14, 64, v14
	v_cmp_le_i32_e32 vcc, s23, v14
	s_and_saveexec_b64 s[2:3], vcc
	s_cbranch_execz .LBB41_13
; %bb.19:                               ;   in Loop: Header=BB41_14 Depth=2
	s_mov_b64 s[4:5], 0
.LBB41_20:                              ;   Parent Loop BB41_6 Depth=1
                                        ;     Parent Loop BB41_14 Depth=2
                                        ; =>    This Inner Loop Header: Depth=3
	v_subrev_u32_e32 v14, s23, v14
	v_cmp_gt_i32_e32 vcc, s23, v14
	s_or_b64 s[4:5], vcc, s[4:5]
	v_add_u32_e32 v15, 1, v15
	s_andn2_b64 exec, exec, s[4:5]
	s_cbranch_execnz .LBB41_20
; %bb.21:                               ;   in Loop: Header=BB41_14 Depth=2
	s_or_b64 exec, exec, s[4:5]
	s_branch .LBB41_13
.LBB41_22:
	s_or_b64 exec, exec, s[8:9]
.LBB41_23:
	s_or_b64 exec, exec, s[6:7]
	v_bfe_u32 v1, v8, 16, 1
	s_movk_i32 s0, 0x7fff
	v_add3_u32 v1, v8, v1, s0
	v_lshrrev_b32_e32 v1, 16, v1
	v_mov_b32_e32 v2, 0x7fc0
	v_cmp_o_f32_e32 vcc, v8, v8
	s_bcnt1_i32_b32 s0, s44
	v_cndmask_b32_e32 v2, v2, v1, vcc
	v_lshl_add_u32 v1, v0, 1, 0
	s_cmp_lg_u32 s0, 1
	s_mov_b64 s[0:1], -1
	ds_write_b16 v1, v2
	s_waitcnt lgkmcnt(0)
	s_barrier
	s_cbranch_scc1 .LBB41_33
; %bb.24:
	s_andn2_b64 vcc, exec, s[0:1]
	s_cbranch_vccnz .LBB41_32
.LBB41_25:
	s_cmp_lt_u32 s44, 2
	s_cbranch_scc1 .LBB41_30
; %bb.26:
	s_movk_i32 s2, 0x7fff
	v_mov_b32_e32 v2, 0x7fc0
	s_branch .LBB41_28
.LBB41_27:                              ;   in Loop: Header=BB41_28 Depth=1
	s_or_b64 exec, exec, s[0:1]
	s_cmp_lt_u32 s44, 4
	s_mov_b32 s44, s3
	s_waitcnt lgkmcnt(0)
	s_barrier
	s_cbranch_scc1 .LBB41_30
.LBB41_28:                              ; =>This Inner Loop Header: Depth=1
	s_lshr_b32 s3, s44, 1
	v_cmp_gt_u32_e32 vcc, s3, v0
	s_and_saveexec_b64 s[0:1], vcc
	s_cbranch_execz .LBB41_27
; %bb.29:                               ;   in Loop: Header=BB41_28 Depth=1
	v_lshl_add_u32 v3, s3, 1, v1
	ds_read_u16 v3, v3
	ds_read_u16 v4, v1
	s_waitcnt lgkmcnt(1)
	v_lshlrev_b32_e32 v3, 16, v3
	s_waitcnt lgkmcnt(0)
	v_lshlrev_b32_e32 v4, 16, v4
	v_add_f32_e32 v3, v4, v3
	v_bfe_u32 v4, v3, 16, 1
	v_add3_u32 v4, v3, v4, s2
	v_lshrrev_b32_e32 v4, 16, v4
	v_cmp_o_f32_e32 vcc, v3, v3
	v_cndmask_b32_e32 v3, v2, v4, vcc
	ds_write_b16 v1, v3
	s_branch .LBB41_27
.LBB41_30:
	v_cmp_eq_u32_e32 vcc, 0, v0
	s_and_saveexec_b64 s[0:1], vcc
	s_cbranch_execz .LBB41_32
; %bb.31:
	s_mul_i32 s0, s11, s33
	s_ashr_i32 s1, s0, 31
	s_lshl_b64 s[0:1], s[0:1], 1
	s_add_u32 s2, s34, s0
	s_mul_i32 s0, s12, s20
	s_addc_u32 s3, s35, s1
	s_ashr_i32 s1, s0, 31
	s_lshl_b64 s[0:1], s[0:1], 1
	s_add_u32 s2, s2, s0
	s_mul_i32 s0, s13, s16
	s_addc_u32 s3, s3, s1
	s_ashr_i32 s1, s0, 31
	s_lshl_b64 s[0:1], s[0:1], 1
	v_mov_b32_e32 v0, 0
	s_add_u32 s2, s2, s0
	s_mul_i32 s0, s14, s10
	ds_read_u16 v1, v0
	s_addc_u32 s3, s3, s1
	s_ashr_i32 s1, s0, 31
	s_lshl_b64 s[0:1], s[0:1], 1
	s_add_u32 s0, s2, s0
	s_addc_u32 s1, s3, s1
	s_waitcnt lgkmcnt(0)
	global_store_short v0, v1, s[0:1]
.LBB41_32:
	s_endpgm
.LBB41_33:
	s_trap 2
	; divergent unreachable
	s_cbranch_execz .LBB41_25
	s_branch .LBB41_32
	.section	.rodata,"a",@progbits
	.p2align	6, 0x0
	.amdhsa_kernel _ZN2at6native12_GLOBAL__N_144conv_depthwise3d_cuda_backward_weight_kernelIN3c108BFloat16EfLi1ELi1EEEvN5torch10headeronly6detail27GenericPackedTensorAccessorINS7_14TensorAccessorINS3_8ArrayRefIlEEKT_Lm4ENS6_16DefaultPtrTraitsEiEENS_6detail16IndexBoundsCheckILm5EiEESD_Lm5ESE_iEESJ_NS8_INS9_ISB_SC_Lm4ESE_iEESI_SC_Lm5ESE_iEEiiiiiiiii
		.amdhsa_group_segment_fixed_size 0
		.amdhsa_private_segment_fixed_size 0
		.amdhsa_kernarg_size 440
		.amdhsa_user_sgpr_count 6
		.amdhsa_user_sgpr_private_segment_buffer 1
		.amdhsa_user_sgpr_dispatch_ptr 0
		.amdhsa_user_sgpr_queue_ptr 0
		.amdhsa_user_sgpr_kernarg_segment_ptr 1
		.amdhsa_user_sgpr_dispatch_id 0
		.amdhsa_user_sgpr_flat_scratch_init 0
		.amdhsa_user_sgpr_kernarg_preload_length 0
		.amdhsa_user_sgpr_kernarg_preload_offset 0
		.amdhsa_user_sgpr_private_segment_size 0
		.amdhsa_uses_dynamic_stack 0
		.amdhsa_system_sgpr_private_segment_wavefront_offset 0
		.amdhsa_system_sgpr_workgroup_id_x 1
		.amdhsa_system_sgpr_workgroup_id_y 0
		.amdhsa_system_sgpr_workgroup_id_z 0
		.amdhsa_system_sgpr_workgroup_info 0
		.amdhsa_system_vgpr_workitem_id 0
		.amdhsa_next_free_vgpr 20
		.amdhsa_next_free_sgpr 50
		.amdhsa_accum_offset 20
		.amdhsa_reserve_vcc 1
		.amdhsa_reserve_flat_scratch 0
		.amdhsa_float_round_mode_32 0
		.amdhsa_float_round_mode_16_64 0
		.amdhsa_float_denorm_mode_32 3
		.amdhsa_float_denorm_mode_16_64 3
		.amdhsa_dx10_clamp 1
		.amdhsa_ieee_mode 1
		.amdhsa_fp16_overflow 0
		.amdhsa_tg_split 0
		.amdhsa_exception_fp_ieee_invalid_op 0
		.amdhsa_exception_fp_denorm_src 0
		.amdhsa_exception_fp_ieee_div_zero 0
		.amdhsa_exception_fp_ieee_overflow 0
		.amdhsa_exception_fp_ieee_underflow 0
		.amdhsa_exception_fp_ieee_inexact 0
		.amdhsa_exception_int_div_zero 0
	.end_amdhsa_kernel
	.section	.text._ZN2at6native12_GLOBAL__N_144conv_depthwise3d_cuda_backward_weight_kernelIN3c108BFloat16EfLi1ELi1EEEvN5torch10headeronly6detail27GenericPackedTensorAccessorINS7_14TensorAccessorINS3_8ArrayRefIlEEKT_Lm4ENS6_16DefaultPtrTraitsEiEENS_6detail16IndexBoundsCheckILm5EiEESD_Lm5ESE_iEESJ_NS8_INS9_ISB_SC_Lm4ESE_iEESI_SC_Lm5ESE_iEEiiiiiiiii,"axG",@progbits,_ZN2at6native12_GLOBAL__N_144conv_depthwise3d_cuda_backward_weight_kernelIN3c108BFloat16EfLi1ELi1EEEvN5torch10headeronly6detail27GenericPackedTensorAccessorINS7_14TensorAccessorINS3_8ArrayRefIlEEKT_Lm4ENS6_16DefaultPtrTraitsEiEENS_6detail16IndexBoundsCheckILm5EiEESD_Lm5ESE_iEESJ_NS8_INS9_ISB_SC_Lm4ESE_iEESI_SC_Lm5ESE_iEEiiiiiiiii,comdat
.Lfunc_end41:
	.size	_ZN2at6native12_GLOBAL__N_144conv_depthwise3d_cuda_backward_weight_kernelIN3c108BFloat16EfLi1ELi1EEEvN5torch10headeronly6detail27GenericPackedTensorAccessorINS7_14TensorAccessorINS3_8ArrayRefIlEEKT_Lm4ENS6_16DefaultPtrTraitsEiEENS_6detail16IndexBoundsCheckILm5EiEESD_Lm5ESE_iEESJ_NS8_INS9_ISB_SC_Lm4ESE_iEESI_SC_Lm5ESE_iEEiiiiiiiii, .Lfunc_end41-_ZN2at6native12_GLOBAL__N_144conv_depthwise3d_cuda_backward_weight_kernelIN3c108BFloat16EfLi1ELi1EEEvN5torch10headeronly6detail27GenericPackedTensorAccessorINS7_14TensorAccessorINS3_8ArrayRefIlEEKT_Lm4ENS6_16DefaultPtrTraitsEiEENS_6detail16IndexBoundsCheckILm5EiEESD_Lm5ESE_iEESJ_NS8_INS9_ISB_SC_Lm4ESE_iEESI_SC_Lm5ESE_iEEiiiiiiiii
                                        ; -- End function
	.section	.AMDGPU.csdata,"",@progbits
; Kernel info:
; codeLenInByte = 1896
; NumSgprs: 54
; NumVgprs: 20
; NumAgprs: 0
; TotalNumVgprs: 20
; ScratchSize: 0
; MemoryBound: 0
; FloatMode: 240
; IeeeMode: 1
; LDSByteSize: 0 bytes/workgroup (compile time only)
; SGPRBlocks: 6
; VGPRBlocks: 2
; NumSGPRsForWavesPerEU: 54
; NumVGPRsForWavesPerEU: 20
; AccumOffset: 20
; Occupancy: 8
; WaveLimiterHint : 1
; COMPUTE_PGM_RSRC2:SCRATCH_EN: 0
; COMPUTE_PGM_RSRC2:USER_SGPR: 6
; COMPUTE_PGM_RSRC2:TRAP_HANDLER: 0
; COMPUTE_PGM_RSRC2:TGID_X_EN: 1
; COMPUTE_PGM_RSRC2:TGID_Y_EN: 0
; COMPUTE_PGM_RSRC2:TGID_Z_EN: 0
; COMPUTE_PGM_RSRC2:TIDIG_COMP_CNT: 0
; COMPUTE_PGM_RSRC3_GFX90A:ACCUM_OFFSET: 4
; COMPUTE_PGM_RSRC3_GFX90A:TG_SPLIT: 0
	.section	.text._ZN2at6native12_GLOBAL__N_144conv_depthwise3d_cuda_backward_weight_kernelIN3c108BFloat16EfLi2ELi2EEEvN5torch10headeronly6detail27GenericPackedTensorAccessorINS7_14TensorAccessorINS3_8ArrayRefIlEEKT_Lm4ENS6_16DefaultPtrTraitsEiEENS_6detail16IndexBoundsCheckILm5EiEESD_Lm5ESE_iEESJ_NS8_INS9_ISB_SC_Lm4ESE_iEESI_SC_Lm5ESE_iEEiiiiiiiii,"axG",@progbits,_ZN2at6native12_GLOBAL__N_144conv_depthwise3d_cuda_backward_weight_kernelIN3c108BFloat16EfLi2ELi2EEEvN5torch10headeronly6detail27GenericPackedTensorAccessorINS7_14TensorAccessorINS3_8ArrayRefIlEEKT_Lm4ENS6_16DefaultPtrTraitsEiEENS_6detail16IndexBoundsCheckILm5EiEESD_Lm5ESE_iEESJ_NS8_INS9_ISB_SC_Lm4ESE_iEESI_SC_Lm5ESE_iEEiiiiiiiii,comdat
	.globl	_ZN2at6native12_GLOBAL__N_144conv_depthwise3d_cuda_backward_weight_kernelIN3c108BFloat16EfLi2ELi2EEEvN5torch10headeronly6detail27GenericPackedTensorAccessorINS7_14TensorAccessorINS3_8ArrayRefIlEEKT_Lm4ENS6_16DefaultPtrTraitsEiEENS_6detail16IndexBoundsCheckILm5EiEESD_Lm5ESE_iEESJ_NS8_INS9_ISB_SC_Lm4ESE_iEESI_SC_Lm5ESE_iEEiiiiiiiii ; -- Begin function _ZN2at6native12_GLOBAL__N_144conv_depthwise3d_cuda_backward_weight_kernelIN3c108BFloat16EfLi2ELi2EEEvN5torch10headeronly6detail27GenericPackedTensorAccessorINS7_14TensorAccessorINS3_8ArrayRefIlEEKT_Lm4ENS6_16DefaultPtrTraitsEiEENS_6detail16IndexBoundsCheckILm5EiEESD_Lm5ESE_iEESJ_NS8_INS9_ISB_SC_Lm4ESE_iEESI_SC_Lm5ESE_iEEiiiiiiiii
	.p2align	8
	.type	_ZN2at6native12_GLOBAL__N_144conv_depthwise3d_cuda_backward_weight_kernelIN3c108BFloat16EfLi2ELi2EEEvN5torch10headeronly6detail27GenericPackedTensorAccessorINS7_14TensorAccessorINS3_8ArrayRefIlEEKT_Lm4ENS6_16DefaultPtrTraitsEiEENS_6detail16IndexBoundsCheckILm5EiEESD_Lm5ESE_iEESJ_NS8_INS9_ISB_SC_Lm4ESE_iEESI_SC_Lm5ESE_iEEiiiiiiiii,@function
_ZN2at6native12_GLOBAL__N_144conv_depthwise3d_cuda_backward_weight_kernelIN3c108BFloat16EfLi2ELi2EEEvN5torch10headeronly6detail27GenericPackedTensorAccessorINS7_14TensorAccessorINS3_8ArrayRefIlEEKT_Lm4ENS6_16DefaultPtrTraitsEiEENS_6detail16IndexBoundsCheckILm5EiEESD_Lm5ESE_iEESJ_NS8_INS9_ISB_SC_Lm4ESE_iEESI_SC_Lm5ESE_iEEiiiiiiiii: ; @_ZN2at6native12_GLOBAL__N_144conv_depthwise3d_cuda_backward_weight_kernelIN3c108BFloat16EfLi2ELi2EEEvN5torch10headeronly6detail27GenericPackedTensorAccessorINS7_14TensorAccessorINS3_8ArrayRefIlEEKT_Lm4ENS6_16DefaultPtrTraitsEiEENS_6detail16IndexBoundsCheckILm5EiEESD_Lm5ESE_iEESJ_NS8_INS9_ISB_SC_Lm4ESE_iEESI_SC_Lm5ESE_iEEiiiiiiiii
; %bb.0:
	s_load_dwordx4 s[8:11], s[4:5], 0x70
	s_add_u32 s0, s4, 0x60
	s_addc_u32 s1, s5, 0
	s_load_dwordx4 s[16:19], s[4:5], 0x3c
	s_load_dwordx4 s[20:23], s[4:5], 0xc
	s_waitcnt lgkmcnt(0)
	v_cvt_f32_u32_e32 v1, s10
	v_cvt_f32_u32_e32 v2, s9
	s_sub_i32 s2, 0, s10
	v_rcp_iflag_f32_e32 v1, v1
	v_rcp_iflag_f32_e32 v2, v2
	v_mul_f32_e32 v1, 0x4f7ffffe, v1
	v_cvt_u32_f32_e32 v1, v1
	v_mul_f32_e32 v2, 0x4f7ffffe, v2
	v_cvt_u32_f32_e32 v2, v2
	v_readfirstlane_b32 s3, v1
	s_mul_i32 s2, s2, s3
	s_mul_hi_u32 s2, s3, s2
	s_add_i32 s3, s3, s2
	s_mul_hi_u32 s2, s6, s3
	s_mul_i32 s3, s2, s10
	s_sub_i32 s3, s6, s3
	s_add_i32 s12, s2, 1
	s_sub_i32 s13, s3, s10
	s_cmp_ge_u32 s3, s10
	s_cselect_b32 s2, s12, s2
	s_cselect_b32 s3, s13, s3
	s_add_i32 s12, s2, 1
	s_cmp_ge_u32 s3, s10
	v_cvt_f32_u32_e32 v1, s8
	v_readfirstlane_b32 s7, v2
	s_cselect_b32 s2, s12, s2
	s_sub_i32 s3, 0, s9
	s_mul_i32 s3, s3, s7
	s_mul_hi_u32 s3, s7, s3
	s_add_i32 s7, s7, s3
	v_rcp_iflag_f32_e32 v1, v1
	s_mul_hi_u32 s3, s2, s7
	s_mul_i32 s7, s3, s9
	s_sub_i32 s7, s2, s7
	s_add_i32 s12, s3, 1
	s_sub_i32 s13, s7, s9
	v_mul_f32_e32 v1, 0x4f7ffffe, v1
	s_cmp_ge_u32 s7, s9
	v_cvt_u32_f32_e32 v1, v1
	s_cselect_b32 s3, s12, s3
	s_cselect_b32 s7, s13, s7
	s_add_i32 s12, s3, 1
	s_cmp_ge_u32 s7, s9
	s_cselect_b32 s3, s12, s3
	s_sub_i32 s7, 0, s8
	v_readfirstlane_b32 s12, v1
	s_mul_i32 s7, s7, s12
	s_mul_hi_u32 s7, s12, s7
	s_add_i32 s12, s12, s7
	s_mul_hi_u32 s7, s3, s12
	s_mul_i32 s12, s7, s8
	s_sub_i32 s12, s3, s12
	s_add_i32 s13, s7, 1
	s_sub_i32 s14, s12, s8
	s_cmp_ge_u32 s12, s8
	s_cselect_b32 s7, s13, s7
	s_cselect_b32 s12, s14, s12
	s_add_i32 s13, s7, 1
	s_cmp_ge_u32 s12, s8
	s_cselect_b32 s33, s13, s7
	s_abs_i32 s7, s16
	v_cvt_f32_u32_e32 v1, s7
	s_sub_i32 s14, 0, s7
	s_abs_i32 s13, s20
	s_xor_b32 s12, s20, s16
	v_rcp_iflag_f32_e32 v1, v1
	s_ashr_i32 s12, s12, 31
	v_mul_f32_e32 v1, 0x4f7ffffe, v1
	v_cvt_u32_f32_e32 v1, v1
	v_readfirstlane_b32 s15, v1
	s_mul_i32 s14, s14, s15
	s_mul_hi_u32 s14, s15, s14
	s_add_i32 s15, s15, s14
	s_mul_hi_u32 s14, s13, s15
	s_mul_i32 s15, s14, s7
	s_sub_i32 s13, s13, s15
	s_add_i32 s15, s14, 1
	s_sub_i32 s16, s13, s7
	s_cmp_ge_u32 s13, s7
	s_cselect_b32 s14, s15, s14
	s_cselect_b32 s13, s16, s13
	s_add_i32 s15, s14, 1
	s_cmp_ge_u32 s13, s7
	s_cselect_b32 s7, s15, s14
	s_xor_b32 s7, s7, s12
	s_sub_i32 s25, s7, s12
	s_abs_i32 s24, s25
	v_cvt_f32_u32_e32 v1, s24
	s_load_dword s7, s[4:5], 0x68
	v_rcp_iflag_f32_e32 v1, v1
	s_waitcnt lgkmcnt(0)
	s_cmp_ge_i32 s33, s7
	v_mul_f32_e32 v1, 0x4f7ffffe, v1
	v_cvt_u32_f32_e32 v1, v1
	v_readfirstlane_b32 s26, v1
	s_cbranch_scc1 .LBB42_32
; %bb.1:
	s_load_dwordx2 s[34:35], s[0:1], 0x0
	s_load_dwordx4 s[12:15], s[0:1], 0x24
	s_mul_i32 s0, s2, s10
	s_sub_i32 s10, s6, s0
	s_mul_i32 s0, s3, s9
	s_sub_i32 s16, s2, s0
	s_load_dword s0, s[4:5], 0xc4
	s_load_dword s45, s[4:5], 0x38
	s_mul_i32 s1, s33, s8
	v_lshrrev_b32_e32 v1, 6, v0
	s_sub_i32 s20, s3, s1
	s_waitcnt lgkmcnt(0)
	s_and_b32 s44, s0, 0xffff
	s_mul_i32 s45, s45, s21
	v_cmp_gt_i32_e32 vcc, s45, v1
	v_mov_b32_e32 v8, 0
	s_and_saveexec_b64 s[6:7], vcc
	s_cbranch_execz .LBB42_23
; %bb.2:
	s_sub_i32 s3, 0, s24
	s_mul_i32 s3, s3, s26
	s_mul_hi_u32 s3, s26, s3
	s_abs_i32 s2, s33
	s_add_i32 s26, s26, s3
	s_ashr_i32 s0, s33, 31
	s_ashr_i32 s1, s25, 31
	s_mul_hi_u32 s3, s2, s26
	s_xor_b32 s25, s0, s1
	s_mul_i32 s0, s3, s24
	s_sub_i32 s0, s2, s0
	s_lshr_b32 s46, s44, 6
	s_add_i32 s1, s3, 1
	s_sub_i32 s2, s0, s24
	s_cmp_ge_u32 s0, s24
	s_cselect_b32 s1, s1, s3
	s_cselect_b32 s0, s2, s0
	s_add_i32 s2, s1, 1
	s_cmp_ge_u32 s0, s24
	s_cselect_b32 s24, s2, s1
	s_abs_i32 s26, s21
	v_cvt_f32_u32_e32 v3, s26
	s_xor_b32 s24, s24, s25
	s_sub_i32 s42, s24, s25
	s_sub_i32 s24, 0, s26
	v_rcp_iflag_f32_e32 v3, v3
	s_load_dwordx4 s[0:3], s[4:5], 0x9c
	s_load_dwordx2 s[8:9], s[4:5], 0xac
	s_ashr_i32 s28, s21, 31
	v_and_b32_e32 v2, 63, v0
	v_mul_f32_e32 v3, 0x4f7ffffe, v3
	v_cvt_u32_f32_e32 v3, v3
	s_waitcnt lgkmcnt(0)
	s_mul_i32 s3, s20, s3
	v_mov_b32_e32 v7, 0
	v_lshlrev_b32_e32 v11, 1, v2
	v_mul_lo_u32 v4, s24, v3
	v_mul_hi_u32 v4, v3, v4
	v_add_u32_e32 v3, v3, v4
	v_mul_hi_u32 v3, v1, v3
	v_mul_lo_u32 v4, v3, s26
	v_sub_u32_e32 v4, v1, v4
	v_add_u32_e32 v5, 1, v3
	v_cmp_le_u32_e32 vcc, s26, v4
	v_cndmask_b32_e32 v3, v3, v5, vcc
	v_subrev_u32_e32 v5, s26, v4
	v_cndmask_b32_e32 v4, v4, v5, vcc
	v_add_u32_e32 v5, 1, v3
	v_cmp_le_u32_e32 vcc, s26, v4
	s_load_dwordx2 s[36:37], s[4:5], 0x0
	s_load_dwordx4 s[24:27], s[4:5], 0x1c
	v_cndmask_b32_e32 v3, v3, v5, vcc
	v_xor_b32_e32 v3, s28, v3
	v_subrev_u32_e32 v5, s28, v3
	s_load_dwordx2 s[40:41], s[4:5], 0x30
	s_load_dwordx4 s[28:31], s[4:5], 0x4c
	s_waitcnt lgkmcnt(0)
	s_mul_i32 s38, s25, s33
	s_ashr_i32 s39, s38, 31
	s_sub_i32 s27, s3, s0
	s_lshl_b64 s[4:5], s[38:39], 1
	s_add_u32 s25, s36, s4
	s_mul_i32 s4, s29, s42
	s_addc_u32 s31, s37, s5
	s_ashr_i32 s5, s4, 31
	s_lshl_b64 s[4:5], s[4:5], 1
	s_add_u32 s29, s40, s4
	s_addc_u32 s47, s41, s5
	s_abs_i32 s0, s23
	v_cvt_f32_u32_e32 v3, s0
	s_mul_i32 s3, s10, s9
	s_sub_i32 s48, s3, s2
	s_mul_i32 s2, s16, s8
	v_rcp_iflag_f32_e32 v3, v3
	v_mul_lo_u32 v4, v5, s21
	s_sub_i32 s49, s2, s1
	s_sub_i32 s2, 0, s0
	v_mul_f32_e32 v3, 0x4f7ffffe, v3
	v_cvt_u32_f32_e32 v3, v3
	v_sub_u32_e32 v6, v1, v4
	s_ashr_i32 s1, s23, 31
	s_mov_b64 s[8:9], 0
	v_mul_lo_u32 v4, s2, v3
	v_mul_hi_u32 v4, v3, v4
	v_add_u32_e32 v3, v3, v4
	v_mul_hi_u32 v3, v2, v3
	v_mul_lo_u32 v4, v3, s0
	v_sub_u32_e32 v4, v2, v4
	v_add_u32_e32 v8, 1, v3
	v_cmp_le_u32_e32 vcc, s0, v4
	v_cndmask_b32_e32 v3, v3, v8, vcc
	v_subrev_u32_e32 v8, s0, v4
	v_cndmask_b32_e32 v4, v4, v8, vcc
	v_add_u32_e32 v8, 1, v3
	v_cmp_le_u32_e32 vcc, s0, v4
	v_cndmask_b32_e32 v3, v3, v8, vcc
	v_xor_b32_e32 v3, s1, v3
	v_subrev_u32_e32 v9, s1, v3
	v_mul_lo_u32 v3, v9, s23
	v_cmp_gt_i32_e64 s[0:1], s22, v9
	v_sub_u32_e32 v10, v2, v3
	v_mov_b32_e32 v8, 0
	s_branch .LBB42_6
.LBB42_3:                               ;   in Loop: Header=BB42_6 Depth=1
	s_or_b64 exec, exec, s[40:41]
.LBB42_4:                               ;   in Loop: Header=BB42_6 Depth=1
	s_or_b64 exec, exec, s[38:39]
.LBB42_5:                               ;   in Loop: Header=BB42_6 Depth=1
	s_or_b64 exec, exec, s[36:37]
	v_add_u32_e32 v1, s46, v1
	v_cmp_le_i32_e32 vcc, s45, v1
	s_or_b64 s[8:9], vcc, s[8:9]
	v_add_u32_e32 v6, s46, v6
	s_andn2_b64 exec, exec, s[8:9]
	s_cbranch_execz .LBB42_22
.LBB42_6:                               ; =>This Loop Header: Depth=1
                                        ;     Child Loop BB42_8 Depth 2
                                        ;     Child Loop BB42_14 Depth 2
                                        ;       Child Loop BB42_20 Depth 3
	v_cmp_le_i32_e32 vcc, s21, v6
	s_and_saveexec_b64 s[2:3], vcc
	s_cbranch_execz .LBB42_10
; %bb.7:                                ;   in Loop: Header=BB42_6 Depth=1
	s_mov_b64 s[4:5], 0
.LBB42_8:                               ;   Parent Loop BB42_6 Depth=1
                                        ; =>  This Inner Loop Header: Depth=2
	v_subrev_u32_e32 v6, s21, v6
	v_cmp_gt_i32_e32 vcc, s21, v6
	s_or_b64 s[4:5], vcc, s[4:5]
	v_add_u32_e32 v5, 1, v5
	s_andn2_b64 exec, exec, s[4:5]
	s_cbranch_execnz .LBB42_8
; %bb.9:                                ;   in Loop: Header=BB42_6 Depth=1
	s_or_b64 exec, exec, s[4:5]
.LBB42_10:                              ;   in Loop: Header=BB42_6 Depth=1
	s_or_b64 exec, exec, s[2:3]
	v_mul_lo_u32 v2, v6, s15
	v_add_u32_e32 v2, s27, v2
	v_cmp_lt_i32_e32 vcc, -1, v2
	v_cmp_gt_i32_e64 s[2:3], s17, v2
	s_and_b64 s[2:3], vcc, s[2:3]
	s_and_saveexec_b64 s[36:37], s[2:3]
	s_cbranch_execz .LBB42_5
; %bb.11:                               ;   in Loop: Header=BB42_6 Depth=1
	s_and_saveexec_b64 s[38:39], s[0:1]
	s_cbranch_execz .LBB42_4
; %bb.12:                               ;   in Loop: Header=BB42_6 Depth=1
	v_mul_lo_u32 v12, s28, v5
	v_ashrrev_i32_e32 v13, 31, v12
	v_lshlrev_b64 v[12:13], 1, v[12:13]
	v_mov_b32_e32 v3, s47
	v_add_co_u32_e32 v4, vcc, s29, v12
	v_mul_lo_u32 v2, s30, v2
	v_addc_co_u32_e32 v13, vcc, v3, v13, vcc
	v_ashrrev_i32_e32 v3, 31, v2
	v_lshlrev_b64 v[2:3], 1, v[2:3]
	v_add_co_u32_e32 v12, vcc, v4, v2
	v_mul_lo_u32 v2, s24, v5
	v_addc_co_u32_e32 v13, vcc, v13, v3, vcc
	v_ashrrev_i32_e32 v3, 31, v2
	v_lshlrev_b64 v[2:3], 1, v[2:3]
	v_mov_b32_e32 v4, s31
	v_add_co_u32_e32 v14, vcc, s25, v2
	v_mul_lo_u32 v2, s26, v6
	v_addc_co_u32_e32 v4, vcc, v4, v3, vcc
	v_ashrrev_i32_e32 v3, 31, v2
	v_lshlrev_b64 v[2:3], 1, v[2:3]
	v_add_co_u32_e32 v2, vcc, v14, v2
	v_addc_co_u32_e32 v3, vcc, v4, v3, vcc
	v_add_co_u32_e32 v2, vcc, v2, v11
	v_addc_co_u32_e32 v3, vcc, 0, v3, vcc
	s_mov_b64 s[40:41], 0
	v_mov_b32_e32 v14, v10
	v_mov_b32_e32 v15, v9
	s_branch .LBB42_14
.LBB42_13:                              ;   in Loop: Header=BB42_14 Depth=2
	s_or_b64 exec, exec, s[2:3]
	v_add_co_u32_e32 v2, vcc, 0x80, v2
	v_addc_co_u32_e32 v3, vcc, 0, v3, vcc
	s_waitcnt vmcnt(0)
	v_lshlrev_b32_e32 v4, 16, v16
	v_cmp_le_i32_e32 vcc, s22, v15
	s_or_b64 s[40:41], vcc, s[40:41]
	v_fmac_f32_e32 v8, v17, v4
	s_andn2_b64 exec, exec, s[40:41]
	s_cbranch_execz .LBB42_3
.LBB42_14:                              ;   Parent Loop BB42_6 Depth=1
                                        ; =>  This Loop Header: Depth=2
                                        ;       Child Loop BB42_20 Depth 3
	global_load_ushort v16, v[2:3], off
	v_lshl_add_u32 v4, v14, 1, s48
	v_cmp_lt_i32_e32 vcc, -1, v4
	v_mov_b32_e32 v17, 0
	s_and_saveexec_b64 s[42:43], vcc
	s_cbranch_execz .LBB42_18
; %bb.15:                               ;   in Loop: Header=BB42_14 Depth=2
	v_lshl_add_u32 v18, v15, 1, s49
	v_cmp_gt_i32_e32 vcc, s19, v4
	v_cmp_gt_i32_e64 s[4:5], s18, v18
	v_cmp_lt_i32_e64 s[2:3], -1, v18
	s_and_b64 s[4:5], vcc, s[4:5]
	s_and_b64 s[4:5], s[4:5], s[2:3]
	v_mov_b32_e32 v17, 0
	s_and_saveexec_b64 s[2:3], s[4:5]
	s_cbranch_execz .LBB42_17
; %bb.16:                               ;   in Loop: Header=BB42_14 Depth=2
	v_mad_u64_u32 v[18:19], s[4:5], v18, s19, v[4:5]
	v_mov_b32_e32 v19, v7
	v_lshlrev_b64 v[18:19], 1, v[18:19]
	v_add_co_u32_e32 v18, vcc, v12, v18
	v_addc_co_u32_e32 v19, vcc, v13, v19, vcc
	global_load_ushort v4, v[18:19], off
	s_waitcnt vmcnt(0)
	v_lshlrev_b32_e32 v17, 16, v4
.LBB42_17:                              ;   in Loop: Header=BB42_14 Depth=2
	s_or_b64 exec, exec, s[2:3]
.LBB42_18:                              ;   in Loop: Header=BB42_14 Depth=2
	s_or_b64 exec, exec, s[42:43]
	v_add_u32_e32 v14, 64, v14
	v_cmp_le_i32_e32 vcc, s23, v14
	s_and_saveexec_b64 s[2:3], vcc
	s_cbranch_execz .LBB42_13
; %bb.19:                               ;   in Loop: Header=BB42_14 Depth=2
	s_mov_b64 s[4:5], 0
.LBB42_20:                              ;   Parent Loop BB42_6 Depth=1
                                        ;     Parent Loop BB42_14 Depth=2
                                        ; =>    This Inner Loop Header: Depth=3
	v_subrev_u32_e32 v14, s23, v14
	v_cmp_gt_i32_e32 vcc, s23, v14
	s_or_b64 s[4:5], vcc, s[4:5]
	v_add_u32_e32 v15, 1, v15
	s_andn2_b64 exec, exec, s[4:5]
	s_cbranch_execnz .LBB42_20
; %bb.21:                               ;   in Loop: Header=BB42_14 Depth=2
	s_or_b64 exec, exec, s[4:5]
	s_branch .LBB42_13
.LBB42_22:
	s_or_b64 exec, exec, s[8:9]
.LBB42_23:
	s_or_b64 exec, exec, s[6:7]
	v_bfe_u32 v1, v8, 16, 1
	s_movk_i32 s0, 0x7fff
	v_add3_u32 v1, v8, v1, s0
	v_lshrrev_b32_e32 v1, 16, v1
	v_mov_b32_e32 v2, 0x7fc0
	v_cmp_o_f32_e32 vcc, v8, v8
	s_bcnt1_i32_b32 s0, s44
	v_cndmask_b32_e32 v2, v2, v1, vcc
	v_lshl_add_u32 v1, v0, 1, 0
	s_cmp_lg_u32 s0, 1
	s_mov_b64 s[0:1], -1
	ds_write_b16 v1, v2
	s_waitcnt lgkmcnt(0)
	s_barrier
	s_cbranch_scc1 .LBB42_33
; %bb.24:
	s_andn2_b64 vcc, exec, s[0:1]
	s_cbranch_vccnz .LBB42_32
.LBB42_25:
	s_cmp_lt_u32 s44, 2
	s_cbranch_scc1 .LBB42_30
; %bb.26:
	s_movk_i32 s2, 0x7fff
	v_mov_b32_e32 v2, 0x7fc0
	s_branch .LBB42_28
.LBB42_27:                              ;   in Loop: Header=BB42_28 Depth=1
	s_or_b64 exec, exec, s[0:1]
	s_cmp_lt_u32 s44, 4
	s_mov_b32 s44, s3
	s_waitcnt lgkmcnt(0)
	s_barrier
	s_cbranch_scc1 .LBB42_30
.LBB42_28:                              ; =>This Inner Loop Header: Depth=1
	s_lshr_b32 s3, s44, 1
	v_cmp_gt_u32_e32 vcc, s3, v0
	s_and_saveexec_b64 s[0:1], vcc
	s_cbranch_execz .LBB42_27
; %bb.29:                               ;   in Loop: Header=BB42_28 Depth=1
	v_lshl_add_u32 v3, s3, 1, v1
	ds_read_u16 v3, v3
	ds_read_u16 v4, v1
	s_waitcnt lgkmcnt(1)
	v_lshlrev_b32_e32 v3, 16, v3
	s_waitcnt lgkmcnt(0)
	v_lshlrev_b32_e32 v4, 16, v4
	v_add_f32_e32 v3, v4, v3
	v_bfe_u32 v4, v3, 16, 1
	v_add3_u32 v4, v3, v4, s2
	v_lshrrev_b32_e32 v4, 16, v4
	v_cmp_o_f32_e32 vcc, v3, v3
	v_cndmask_b32_e32 v3, v2, v4, vcc
	ds_write_b16 v1, v3
	s_branch .LBB42_27
.LBB42_30:
	v_cmp_eq_u32_e32 vcc, 0, v0
	s_and_saveexec_b64 s[0:1], vcc
	s_cbranch_execz .LBB42_32
; %bb.31:
	s_mul_i32 s0, s11, s33
	s_ashr_i32 s1, s0, 31
	s_lshl_b64 s[0:1], s[0:1], 1
	s_add_u32 s2, s34, s0
	s_mul_i32 s0, s12, s20
	s_addc_u32 s3, s35, s1
	s_ashr_i32 s1, s0, 31
	s_lshl_b64 s[0:1], s[0:1], 1
	s_add_u32 s2, s2, s0
	s_mul_i32 s0, s13, s16
	s_addc_u32 s3, s3, s1
	s_ashr_i32 s1, s0, 31
	s_lshl_b64 s[0:1], s[0:1], 1
	v_mov_b32_e32 v0, 0
	s_add_u32 s2, s2, s0
	s_mul_i32 s0, s14, s10
	ds_read_u16 v1, v0
	s_addc_u32 s3, s3, s1
	s_ashr_i32 s1, s0, 31
	s_lshl_b64 s[0:1], s[0:1], 1
	s_add_u32 s0, s2, s0
	s_addc_u32 s1, s3, s1
	s_waitcnt lgkmcnt(0)
	global_store_short v0, v1, s[0:1]
.LBB42_32:
	s_endpgm
.LBB42_33:
	s_trap 2
	; divergent unreachable
	s_cbranch_execz .LBB42_25
	s_branch .LBB42_32
	.section	.rodata,"a",@progbits
	.p2align	6, 0x0
	.amdhsa_kernel _ZN2at6native12_GLOBAL__N_144conv_depthwise3d_cuda_backward_weight_kernelIN3c108BFloat16EfLi2ELi2EEEvN5torch10headeronly6detail27GenericPackedTensorAccessorINS7_14TensorAccessorINS3_8ArrayRefIlEEKT_Lm4ENS6_16DefaultPtrTraitsEiEENS_6detail16IndexBoundsCheckILm5EiEESD_Lm5ESE_iEESJ_NS8_INS9_ISB_SC_Lm4ESE_iEESI_SC_Lm5ESE_iEEiiiiiiiii
		.amdhsa_group_segment_fixed_size 0
		.amdhsa_private_segment_fixed_size 0
		.amdhsa_kernarg_size 440
		.amdhsa_user_sgpr_count 6
		.amdhsa_user_sgpr_private_segment_buffer 1
		.amdhsa_user_sgpr_dispatch_ptr 0
		.amdhsa_user_sgpr_queue_ptr 0
		.amdhsa_user_sgpr_kernarg_segment_ptr 1
		.amdhsa_user_sgpr_dispatch_id 0
		.amdhsa_user_sgpr_flat_scratch_init 0
		.amdhsa_user_sgpr_kernarg_preload_length 0
		.amdhsa_user_sgpr_kernarg_preload_offset 0
		.amdhsa_user_sgpr_private_segment_size 0
		.amdhsa_uses_dynamic_stack 0
		.amdhsa_system_sgpr_private_segment_wavefront_offset 0
		.amdhsa_system_sgpr_workgroup_id_x 1
		.amdhsa_system_sgpr_workgroup_id_y 0
		.amdhsa_system_sgpr_workgroup_id_z 0
		.amdhsa_system_sgpr_workgroup_info 0
		.amdhsa_system_vgpr_workitem_id 0
		.amdhsa_next_free_vgpr 20
		.amdhsa_next_free_sgpr 50
		.amdhsa_accum_offset 20
		.amdhsa_reserve_vcc 1
		.amdhsa_reserve_flat_scratch 0
		.amdhsa_float_round_mode_32 0
		.amdhsa_float_round_mode_16_64 0
		.amdhsa_float_denorm_mode_32 3
		.amdhsa_float_denorm_mode_16_64 3
		.amdhsa_dx10_clamp 1
		.amdhsa_ieee_mode 1
		.amdhsa_fp16_overflow 0
		.amdhsa_tg_split 0
		.amdhsa_exception_fp_ieee_invalid_op 0
		.amdhsa_exception_fp_denorm_src 0
		.amdhsa_exception_fp_ieee_div_zero 0
		.amdhsa_exception_fp_ieee_overflow 0
		.amdhsa_exception_fp_ieee_underflow 0
		.amdhsa_exception_fp_ieee_inexact 0
		.amdhsa_exception_int_div_zero 0
	.end_amdhsa_kernel
	.section	.text._ZN2at6native12_GLOBAL__N_144conv_depthwise3d_cuda_backward_weight_kernelIN3c108BFloat16EfLi2ELi2EEEvN5torch10headeronly6detail27GenericPackedTensorAccessorINS7_14TensorAccessorINS3_8ArrayRefIlEEKT_Lm4ENS6_16DefaultPtrTraitsEiEENS_6detail16IndexBoundsCheckILm5EiEESD_Lm5ESE_iEESJ_NS8_INS9_ISB_SC_Lm4ESE_iEESI_SC_Lm5ESE_iEEiiiiiiiii,"axG",@progbits,_ZN2at6native12_GLOBAL__N_144conv_depthwise3d_cuda_backward_weight_kernelIN3c108BFloat16EfLi2ELi2EEEvN5torch10headeronly6detail27GenericPackedTensorAccessorINS7_14TensorAccessorINS3_8ArrayRefIlEEKT_Lm4ENS6_16DefaultPtrTraitsEiEENS_6detail16IndexBoundsCheckILm5EiEESD_Lm5ESE_iEESJ_NS8_INS9_ISB_SC_Lm4ESE_iEESI_SC_Lm5ESE_iEEiiiiiiiii,comdat
.Lfunc_end42:
	.size	_ZN2at6native12_GLOBAL__N_144conv_depthwise3d_cuda_backward_weight_kernelIN3c108BFloat16EfLi2ELi2EEEvN5torch10headeronly6detail27GenericPackedTensorAccessorINS7_14TensorAccessorINS3_8ArrayRefIlEEKT_Lm4ENS6_16DefaultPtrTraitsEiEENS_6detail16IndexBoundsCheckILm5EiEESD_Lm5ESE_iEESJ_NS8_INS9_ISB_SC_Lm4ESE_iEESI_SC_Lm5ESE_iEEiiiiiiiii, .Lfunc_end42-_ZN2at6native12_GLOBAL__N_144conv_depthwise3d_cuda_backward_weight_kernelIN3c108BFloat16EfLi2ELi2EEEvN5torch10headeronly6detail27GenericPackedTensorAccessorINS7_14TensorAccessorINS3_8ArrayRefIlEEKT_Lm4ENS6_16DefaultPtrTraitsEiEENS_6detail16IndexBoundsCheckILm5EiEESD_Lm5ESE_iEESJ_NS8_INS9_ISB_SC_Lm4ESE_iEESI_SC_Lm5ESE_iEEiiiiiiiii
                                        ; -- End function
	.section	.AMDGPU.csdata,"",@progbits
; Kernel info:
; codeLenInByte = 1904
; NumSgprs: 54
; NumVgprs: 20
; NumAgprs: 0
; TotalNumVgprs: 20
; ScratchSize: 0
; MemoryBound: 0
; FloatMode: 240
; IeeeMode: 1
; LDSByteSize: 0 bytes/workgroup (compile time only)
; SGPRBlocks: 6
; VGPRBlocks: 2
; NumSGPRsForWavesPerEU: 54
; NumVGPRsForWavesPerEU: 20
; AccumOffset: 20
; Occupancy: 8
; WaveLimiterHint : 1
; COMPUTE_PGM_RSRC2:SCRATCH_EN: 0
; COMPUTE_PGM_RSRC2:USER_SGPR: 6
; COMPUTE_PGM_RSRC2:TRAP_HANDLER: 0
; COMPUTE_PGM_RSRC2:TGID_X_EN: 1
; COMPUTE_PGM_RSRC2:TGID_Y_EN: 0
; COMPUTE_PGM_RSRC2:TGID_Z_EN: 0
; COMPUTE_PGM_RSRC2:TIDIG_COMP_CNT: 0
; COMPUTE_PGM_RSRC3_GFX90A:ACCUM_OFFSET: 4
; COMPUTE_PGM_RSRC3_GFX90A:TG_SPLIT: 0
	.section	.text._ZN2at6native12_GLOBAL__N_144conv_depthwise3d_cuda_backward_weight_kernelIN3c108BFloat16EfLin1ELin1EEEvN5torch10headeronly6detail27GenericPackedTensorAccessorINS7_14TensorAccessorINS3_8ArrayRefIlEEKT_Lm4ENS6_16DefaultPtrTraitsEiEENS_6detail16IndexBoundsCheckILm5EiEESD_Lm5ESE_iEESJ_NS8_INS9_ISB_SC_Lm4ESE_iEESI_SC_Lm5ESE_iEEiiiiiiiii,"axG",@progbits,_ZN2at6native12_GLOBAL__N_144conv_depthwise3d_cuda_backward_weight_kernelIN3c108BFloat16EfLin1ELin1EEEvN5torch10headeronly6detail27GenericPackedTensorAccessorINS7_14TensorAccessorINS3_8ArrayRefIlEEKT_Lm4ENS6_16DefaultPtrTraitsEiEENS_6detail16IndexBoundsCheckILm5EiEESD_Lm5ESE_iEESJ_NS8_INS9_ISB_SC_Lm4ESE_iEESI_SC_Lm5ESE_iEEiiiiiiiii,comdat
	.globl	_ZN2at6native12_GLOBAL__N_144conv_depthwise3d_cuda_backward_weight_kernelIN3c108BFloat16EfLin1ELin1EEEvN5torch10headeronly6detail27GenericPackedTensorAccessorINS7_14TensorAccessorINS3_8ArrayRefIlEEKT_Lm4ENS6_16DefaultPtrTraitsEiEENS_6detail16IndexBoundsCheckILm5EiEESD_Lm5ESE_iEESJ_NS8_INS9_ISB_SC_Lm4ESE_iEESI_SC_Lm5ESE_iEEiiiiiiiii ; -- Begin function _ZN2at6native12_GLOBAL__N_144conv_depthwise3d_cuda_backward_weight_kernelIN3c108BFloat16EfLin1ELin1EEEvN5torch10headeronly6detail27GenericPackedTensorAccessorINS7_14TensorAccessorINS3_8ArrayRefIlEEKT_Lm4ENS6_16DefaultPtrTraitsEiEENS_6detail16IndexBoundsCheckILm5EiEESD_Lm5ESE_iEESJ_NS8_INS9_ISB_SC_Lm4ESE_iEESI_SC_Lm5ESE_iEEiiiiiiiii
	.p2align	8
	.type	_ZN2at6native12_GLOBAL__N_144conv_depthwise3d_cuda_backward_weight_kernelIN3c108BFloat16EfLin1ELin1EEEvN5torch10headeronly6detail27GenericPackedTensorAccessorINS7_14TensorAccessorINS3_8ArrayRefIlEEKT_Lm4ENS6_16DefaultPtrTraitsEiEENS_6detail16IndexBoundsCheckILm5EiEESD_Lm5ESE_iEESJ_NS8_INS9_ISB_SC_Lm4ESE_iEESI_SC_Lm5ESE_iEEiiiiiiiii,@function
_ZN2at6native12_GLOBAL__N_144conv_depthwise3d_cuda_backward_weight_kernelIN3c108BFloat16EfLin1ELin1EEEvN5torch10headeronly6detail27GenericPackedTensorAccessorINS7_14TensorAccessorINS3_8ArrayRefIlEEKT_Lm4ENS6_16DefaultPtrTraitsEiEENS_6detail16IndexBoundsCheckILm5EiEESD_Lm5ESE_iEESJ_NS8_INS9_ISB_SC_Lm4ESE_iEESI_SC_Lm5ESE_iEEiiiiiiiii: ; @_ZN2at6native12_GLOBAL__N_144conv_depthwise3d_cuda_backward_weight_kernelIN3c108BFloat16EfLin1ELin1EEEvN5torch10headeronly6detail27GenericPackedTensorAccessorINS7_14TensorAccessorINS3_8ArrayRefIlEEKT_Lm4ENS6_16DefaultPtrTraitsEiEENS_6detail16IndexBoundsCheckILm5EiEESD_Lm5ESE_iEESJ_NS8_INS9_ISB_SC_Lm4ESE_iEESI_SC_Lm5ESE_iEEiiiiiiiii
; %bb.0:
	s_load_dwordx4 s[16:19], s[4:5], 0x70
	s_add_u32 s28, s4, 0x60
	s_addc_u32 s29, s5, 0
	s_load_dwordx4 s[20:23], s[4:5], 0x3c
	s_load_dwordx4 s[24:27], s[4:5], 0xc
	s_waitcnt lgkmcnt(0)
	v_cvt_f32_u32_e32 v1, s18
	v_cvt_f32_u32_e32 v2, s17
	s_sub_i32 s0, 0, s18
	v_rcp_iflag_f32_e32 v1, v1
	v_rcp_iflag_f32_e32 v2, v2
	v_mul_f32_e32 v1, 0x4f7ffffe, v1
	v_cvt_u32_f32_e32 v1, v1
	v_mul_f32_e32 v2, 0x4f7ffffe, v2
	v_cvt_u32_f32_e32 v2, v2
	v_readfirstlane_b32 s1, v1
	s_mul_i32 s0, s0, s1
	s_mul_hi_u32 s0, s1, s0
	s_add_i32 s1, s1, s0
	s_mul_hi_u32 s0, s6, s1
	s_mul_i32 s1, s0, s18
	s_sub_i32 s1, s6, s1
	s_add_i32 s3, s0, 1
	s_sub_i32 s7, s1, s18
	s_cmp_ge_u32 s1, s18
	s_cselect_b32 s0, s3, s0
	s_cselect_b32 s1, s7, s1
	s_add_i32 s3, s0, 1
	s_cmp_ge_u32 s1, s18
	v_cvt_f32_u32_e32 v1, s16
	v_readfirstlane_b32 s2, v2
	s_cselect_b32 s7, s3, s0
	s_sub_i32 s0, 0, s17
	s_mul_i32 s0, s0, s2
	s_mul_hi_u32 s0, s2, s0
	s_add_i32 s2, s2, s0
	v_rcp_iflag_f32_e32 v1, v1
	s_mul_hi_u32 s0, s7, s2
	s_mul_i32 s1, s0, s17
	s_sub_i32 s1, s7, s1
	s_add_i32 s2, s0, 1
	s_sub_i32 s3, s1, s17
	v_mul_f32_e32 v1, 0x4f7ffffe, v1
	s_cmp_ge_u32 s1, s17
	v_cvt_u32_f32_e32 v1, v1
	s_cselect_b32 s0, s2, s0
	s_cselect_b32 s1, s3, s1
	s_add_i32 s2, s0, 1
	s_cmp_ge_u32 s1, s17
	s_cselect_b32 s30, s2, s0
	s_sub_i32 s0, 0, s16
	v_readfirstlane_b32 s1, v1
	s_mul_i32 s0, s0, s1
	s_mul_hi_u32 s0, s1, s0
	s_add_i32 s1, s1, s0
	s_mul_hi_u32 s0, s30, s1
	s_mul_i32 s1, s0, s16
	s_sub_i32 s1, s30, s1
	s_add_i32 s2, s0, 1
	s_sub_i32 s3, s1, s16
	s_cmp_ge_u32 s1, s16
	s_cselect_b32 s0, s2, s0
	s_cselect_b32 s1, s3, s1
	s_add_i32 s2, s0, 1
	s_cmp_ge_u32 s1, s16
	s_cselect_b32 s33, s2, s0
	s_abs_i32 s0, s20
	v_cvt_f32_u32_e32 v1, s0
	s_sub_i32 s3, 0, s0
	s_abs_i32 s2, s24
	s_xor_b32 s1, s24, s20
	v_rcp_iflag_f32_e32 v1, v1
	s_ashr_i32 s1, s1, 31
	v_mul_f32_e32 v1, 0x4f7ffffe, v1
	v_cvt_u32_f32_e32 v1, v1
	v_readfirstlane_b32 s8, v1
	s_mul_i32 s3, s3, s8
	s_mul_hi_u32 s3, s8, s3
	s_add_i32 s8, s8, s3
	s_mul_hi_u32 s3, s2, s8
	s_mul_i32 s8, s3, s0
	s_sub_i32 s2, s2, s8
	s_add_i32 s8, s3, 1
	s_sub_i32 s9, s2, s0
	s_cmp_ge_u32 s2, s0
	s_cselect_b32 s3, s8, s3
	s_cselect_b32 s2, s9, s2
	s_add_i32 s8, s3, 1
	s_cmp_ge_u32 s2, s0
	s_cselect_b32 s0, s8, s3
	s_xor_b32 s0, s0, s1
	s_sub_i32 s36, s0, s1
	s_abs_i32 s31, s36
	v_cvt_f32_u32_e32 v1, s31
	s_load_dword s0, s[4:5], 0x68
	v_rcp_iflag_f32_e32 v1, v1
	s_waitcnt lgkmcnt(0)
	s_cmp_ge_i32 s33, s0
	v_mul_f32_e32 v1, 0x4f7ffffe, v1
	v_cvt_u32_f32_e32 v1, v1
	v_readfirstlane_b32 s37, v1
	s_cbranch_scc1 .LBB43_32
; %bb.1:
	s_mul_i32 s18, s7, s18
	s_sub_i32 s18, s6, s18
	s_mul_i32 s6, s30, s17
	s_load_dwordx4 s[0:3], s[28:29], 0x44
	s_load_dwordx2 s[34:35], s[28:29], 0x0
	s_load_dwordx8 s[8:15], s[28:29], 0x24
	s_sub_i32 s20, s7, s6
	s_load_dword s6, s[4:5], 0xc4
	s_load_dword s47, s[4:5], 0x38
	s_mul_i32 s7, s33, s16
	v_lshrrev_b32_e32 v1, 6, v0
	s_sub_i32 s24, s30, s7
	s_waitcnt lgkmcnt(0)
	s_and_b32 s46, s6, 0xffff
	s_mul_i32 s47, s47, s25
	v_cmp_gt_i32_e32 vcc, s47, v1
	v_mov_b32_e32 v8, 0
	s_and_saveexec_b64 s[6:7], vcc
	s_cbranch_execz .LBB43_23
; %bb.2:
	s_sub_i32 s29, 0, s31
	s_mul_i32 s29, s29, s37
	s_mul_hi_u32 s29, s37, s29
	s_abs_i32 s28, s33
	s_add_i32 s37, s37, s29
	s_ashr_i32 s16, s33, 31
	s_ashr_i32 s17, s36, 31
	s_mul_hi_u32 s29, s28, s37
	s_xor_b32 s16, s16, s17
	s_mul_i32 s17, s29, s31
	s_sub_i32 s17, s28, s17
	s_lshr_b32 s48, s46, 6
	s_add_i32 s28, s29, 1
	s_sub_i32 s30, s17, s31
	s_cmp_ge_u32 s17, s31
	s_cselect_b32 s28, s28, s29
	s_cselect_b32 s17, s30, s17
	s_add_i32 s29, s28, 1
	s_cmp_ge_u32 s17, s31
	s_cselect_b32 s17, s29, s28
	s_abs_i32 s28, s25
	v_cvt_f32_u32_e32 v2, s28
	s_xor_b32 s17, s17, s16
	s_sub_i32 s44, s17, s16
	s_sub_i32 s16, 0, s28
	v_rcp_iflag_f32_e32 v3, v2
	s_ashr_i32 s36, s25, 31
	s_mul_i32 s1, s24, s1
	s_mul_i32 s3, s18, s3
	v_mul_f32_e32 v3, 0x4f7ffffe, v3
	v_cvt_u32_f32_e32 v3, v3
	v_and_b32_e32 v2, 63, v0
	v_mov_b32_e32 v7, 0
	v_lshlrev_b32_e32 v11, 1, v2
	v_mul_lo_u32 v4, s16, v3
	v_mul_hi_u32 v4, v3, v4
	v_add_u32_e32 v3, v3, v4
	v_mul_hi_u32 v3, v1, v3
	v_mul_lo_u32 v4, v3, s28
	v_sub_u32_e32 v4, v1, v4
	v_add_u32_e32 v5, 1, v3
	v_cmp_le_u32_e32 vcc, s28, v4
	v_cndmask_b32_e32 v3, v3, v5, vcc
	v_subrev_u32_e32 v5, s28, v4
	v_cndmask_b32_e32 v4, v4, v5, vcc
	v_add_u32_e32 v5, 1, v3
	v_cmp_le_u32_e32 vcc, s28, v4
	s_load_dwordx2 s[16:17], s[4:5], 0x0
	s_load_dwordx4 s[28:31], s[4:5], 0x1c
	v_cndmask_b32_e32 v3, v3, v5, vcc
	v_xor_b32_e32 v3, s36, v3
	v_subrev_u32_e32 v5, s36, v3
	s_load_dwordx2 s[42:43], s[4:5], 0x30
	s_load_dwordx4 s[36:39], s[4:5], 0x4c
	s_waitcnt lgkmcnt(0)
	s_mul_i32 s40, s29, s33
	s_ashr_i32 s41, s40, 31
	s_sub_i32 s31, s1, s14
	s_lshl_b64 s[4:5], s[40:41], 1
	s_add_u32 s29, s16, s4
	s_mul_i32 s4, s37, s44
	s_addc_u32 s39, s17, s5
	s_ashr_i32 s5, s4, 31
	s_lshl_b64 s[4:5], s[4:5], 1
	s_add_u32 s37, s42, s4
	s_addc_u32 s49, s43, s5
	s_abs_i32 s1, s27
	v_cvt_f32_u32_e32 v3, s1
	v_mul_lo_u32 v4, v5, s25
	s_sub_i32 s50, s3, s0
	s_mul_i32 s0, s20, s2
	v_rcp_iflag_f32_e32 v3, v3
	s_sub_i32 s2, 0, s1
	v_sub_u32_e32 v6, v1, v4
	s_sub_i32 s51, s0, s15
	v_mul_f32_e32 v3, 0x4f7ffffe, v3
	v_cvt_u32_f32_e32 v3, v3
	s_ashr_i32 s0, s27, 31
	s_mov_b64 s[14:15], 0
	v_mul_lo_u32 v4, s2, v3
	v_mul_hi_u32 v4, v3, v4
	v_add_u32_e32 v3, v3, v4
	v_mul_hi_u32 v3, v2, v3
	v_mul_lo_u32 v4, v3, s1
	v_sub_u32_e32 v4, v2, v4
	v_add_u32_e32 v8, 1, v3
	v_cmp_le_u32_e32 vcc, s1, v4
	v_cndmask_b32_e32 v3, v3, v8, vcc
	v_subrev_u32_e32 v8, s1, v4
	v_cndmask_b32_e32 v4, v4, v8, vcc
	v_add_u32_e32 v8, 1, v3
	v_cmp_le_u32_e32 vcc, s1, v4
	v_cndmask_b32_e32 v3, v3, v8, vcc
	v_xor_b32_e32 v3, s0, v3
	v_subrev_u32_e32 v9, s0, v3
	v_mul_lo_u32 v3, v9, s27
	v_cmp_gt_i32_e64 s[0:1], s26, v9
	v_sub_u32_e32 v10, v2, v3
	v_mov_b32_e32 v8, 0
	s_branch .LBB43_6
.LBB43_3:                               ;   in Loop: Header=BB43_6 Depth=1
	s_or_b64 exec, exec, s[42:43]
.LBB43_4:                               ;   in Loop: Header=BB43_6 Depth=1
	s_or_b64 exec, exec, s[40:41]
.LBB43_5:                               ;   in Loop: Header=BB43_6 Depth=1
	s_or_b64 exec, exec, s[16:17]
	v_add_u32_e32 v1, s48, v1
	v_cmp_le_i32_e32 vcc, s47, v1
	s_or_b64 s[14:15], vcc, s[14:15]
	v_add_u32_e32 v6, s48, v6
	s_andn2_b64 exec, exec, s[14:15]
	s_cbranch_execz .LBB43_22
.LBB43_6:                               ; =>This Loop Header: Depth=1
                                        ;     Child Loop BB43_8 Depth 2
                                        ;     Child Loop BB43_14 Depth 2
                                        ;       Child Loop BB43_20 Depth 3
	v_cmp_le_i32_e32 vcc, s25, v6
	s_and_saveexec_b64 s[2:3], vcc
	s_cbranch_execz .LBB43_10
; %bb.7:                                ;   in Loop: Header=BB43_6 Depth=1
	s_mov_b64 s[4:5], 0
.LBB43_8:                               ;   Parent Loop BB43_6 Depth=1
                                        ; =>  This Inner Loop Header: Depth=2
	v_subrev_u32_e32 v6, s25, v6
	v_cmp_gt_i32_e32 vcc, s25, v6
	s_or_b64 s[4:5], vcc, s[4:5]
	v_add_u32_e32 v5, 1, v5
	s_andn2_b64 exec, exec, s[4:5]
	s_cbranch_execnz .LBB43_8
; %bb.9:                                ;   in Loop: Header=BB43_6 Depth=1
	s_or_b64 exec, exec, s[4:5]
.LBB43_10:                              ;   in Loop: Header=BB43_6 Depth=1
	s_or_b64 exec, exec, s[2:3]
	v_mul_lo_u32 v2, v6, s11
	v_add_u32_e32 v2, s31, v2
	v_cmp_lt_i32_e32 vcc, -1, v2
	v_cmp_gt_i32_e64 s[2:3], s21, v2
	s_and_b64 s[2:3], vcc, s[2:3]
	s_and_saveexec_b64 s[16:17], s[2:3]
	s_cbranch_execz .LBB43_5
; %bb.11:                               ;   in Loop: Header=BB43_6 Depth=1
	s_and_saveexec_b64 s[40:41], s[0:1]
	s_cbranch_execz .LBB43_4
; %bb.12:                               ;   in Loop: Header=BB43_6 Depth=1
	v_mul_lo_u32 v12, s36, v5
	v_ashrrev_i32_e32 v13, 31, v12
	v_lshlrev_b64 v[12:13], 1, v[12:13]
	v_mov_b32_e32 v3, s49
	v_add_co_u32_e32 v4, vcc, s37, v12
	v_mul_lo_u32 v2, s38, v2
	v_addc_co_u32_e32 v13, vcc, v3, v13, vcc
	v_ashrrev_i32_e32 v3, 31, v2
	v_lshlrev_b64 v[2:3], 1, v[2:3]
	v_add_co_u32_e32 v12, vcc, v4, v2
	v_mul_lo_u32 v2, s28, v5
	v_addc_co_u32_e32 v13, vcc, v13, v3, vcc
	v_ashrrev_i32_e32 v3, 31, v2
	v_lshlrev_b64 v[2:3], 1, v[2:3]
	v_mov_b32_e32 v4, s39
	v_add_co_u32_e32 v14, vcc, s29, v2
	v_mul_lo_u32 v2, s30, v6
	v_addc_co_u32_e32 v4, vcc, v4, v3, vcc
	v_ashrrev_i32_e32 v3, 31, v2
	v_lshlrev_b64 v[2:3], 1, v[2:3]
	v_add_co_u32_e32 v2, vcc, v14, v2
	v_addc_co_u32_e32 v3, vcc, v4, v3, vcc
	v_add_co_u32_e32 v2, vcc, v2, v11
	v_addc_co_u32_e32 v3, vcc, 0, v3, vcc
	s_mov_b64 s[42:43], 0
	v_mov_b32_e32 v14, v10
	v_mov_b32_e32 v15, v9
	s_branch .LBB43_14
.LBB43_13:                              ;   in Loop: Header=BB43_14 Depth=2
	s_or_b64 exec, exec, s[2:3]
	v_add_co_u32_e32 v2, vcc, 0x80, v2
	v_addc_co_u32_e32 v3, vcc, 0, v3, vcc
	s_waitcnt vmcnt(0)
	v_lshlrev_b32_e32 v4, 16, v16
	v_cmp_le_i32_e32 vcc, s26, v15
	s_or_b64 s[42:43], vcc, s[42:43]
	v_fmac_f32_e32 v8, v17, v4
	s_andn2_b64 exec, exec, s[42:43]
	s_cbranch_execz .LBB43_3
.LBB43_14:                              ;   Parent Loop BB43_6 Depth=1
                                        ; =>  This Loop Header: Depth=2
                                        ;       Child Loop BB43_20 Depth 3
	global_load_ushort v16, v[2:3], off
	v_mul_lo_u32 v4, v14, s13
	v_add_u32_e32 v4, s50, v4
	v_cmp_lt_i32_e32 vcc, -1, v4
	v_mov_b32_e32 v17, 0
	s_and_saveexec_b64 s[44:45], vcc
	s_cbranch_execz .LBB43_18
; %bb.15:                               ;   in Loop: Header=BB43_14 Depth=2
	v_mul_lo_u32 v17, v15, s12
	v_add_u32_e32 v18, s51, v17
	v_cmp_gt_i32_e32 vcc, s23, v4
	v_cmp_gt_i32_e64 s[4:5], s22, v18
	v_cmp_lt_i32_e64 s[2:3], -1, v18
	s_and_b64 s[4:5], vcc, s[4:5]
	s_and_b64 s[4:5], s[4:5], s[2:3]
	v_mov_b32_e32 v17, 0
	s_and_saveexec_b64 s[2:3], s[4:5]
	s_cbranch_execz .LBB43_17
; %bb.16:                               ;   in Loop: Header=BB43_14 Depth=2
	v_mad_u64_u32 v[18:19], s[4:5], v18, s23, v[4:5]
	v_mov_b32_e32 v19, v7
	v_lshlrev_b64 v[18:19], 1, v[18:19]
	v_add_co_u32_e32 v18, vcc, v12, v18
	v_addc_co_u32_e32 v19, vcc, v13, v19, vcc
	global_load_ushort v4, v[18:19], off
	s_waitcnt vmcnt(0)
	v_lshlrev_b32_e32 v17, 16, v4
.LBB43_17:                              ;   in Loop: Header=BB43_14 Depth=2
	s_or_b64 exec, exec, s[2:3]
.LBB43_18:                              ;   in Loop: Header=BB43_14 Depth=2
	s_or_b64 exec, exec, s[44:45]
	v_add_u32_e32 v14, 64, v14
	v_cmp_le_i32_e32 vcc, s27, v14
	s_and_saveexec_b64 s[2:3], vcc
	s_cbranch_execz .LBB43_13
; %bb.19:                               ;   in Loop: Header=BB43_14 Depth=2
	s_mov_b64 s[4:5], 0
.LBB43_20:                              ;   Parent Loop BB43_6 Depth=1
                                        ;     Parent Loop BB43_14 Depth=2
                                        ; =>    This Inner Loop Header: Depth=3
	v_subrev_u32_e32 v14, s27, v14
	v_cmp_gt_i32_e32 vcc, s27, v14
	s_or_b64 s[4:5], vcc, s[4:5]
	v_add_u32_e32 v15, 1, v15
	s_andn2_b64 exec, exec, s[4:5]
	s_cbranch_execnz .LBB43_20
; %bb.21:                               ;   in Loop: Header=BB43_14 Depth=2
	s_or_b64 exec, exec, s[4:5]
	s_branch .LBB43_13
.LBB43_22:
	s_or_b64 exec, exec, s[14:15]
.LBB43_23:
	s_or_b64 exec, exec, s[6:7]
	v_bfe_u32 v1, v8, 16, 1
	s_movk_i32 s0, 0x7fff
	v_add3_u32 v1, v8, v1, s0
	v_lshrrev_b32_e32 v1, 16, v1
	v_mov_b32_e32 v2, 0x7fc0
	v_cmp_o_f32_e32 vcc, v8, v8
	s_bcnt1_i32_b32 s0, s46
	v_cndmask_b32_e32 v2, v2, v1, vcc
	v_lshl_add_u32 v1, v0, 1, 0
	s_cmp_lg_u32 s0, 1
	s_mov_b64 s[0:1], -1
	ds_write_b16 v1, v2
	s_waitcnt lgkmcnt(0)
	s_barrier
	s_cbranch_scc1 .LBB43_33
; %bb.24:
	s_andn2_b64 vcc, exec, s[0:1]
	s_cbranch_vccnz .LBB43_32
.LBB43_25:
	s_cmp_lt_u32 s46, 2
	s_cbranch_scc1 .LBB43_30
; %bb.26:
	s_movk_i32 s2, 0x7fff
	v_mov_b32_e32 v2, 0x7fc0
	s_branch .LBB43_28
.LBB43_27:                              ;   in Loop: Header=BB43_28 Depth=1
	s_or_b64 exec, exec, s[0:1]
	s_cmp_lt_u32 s46, 4
	s_mov_b32 s46, s3
	s_waitcnt lgkmcnt(0)
	s_barrier
	s_cbranch_scc1 .LBB43_30
.LBB43_28:                              ; =>This Inner Loop Header: Depth=1
	s_lshr_b32 s3, s46, 1
	v_cmp_gt_u32_e32 vcc, s3, v0
	s_and_saveexec_b64 s[0:1], vcc
	s_cbranch_execz .LBB43_27
; %bb.29:                               ;   in Loop: Header=BB43_28 Depth=1
	v_lshl_add_u32 v3, s3, 1, v1
	ds_read_u16 v3, v3
	ds_read_u16 v4, v1
	s_waitcnt lgkmcnt(1)
	v_lshlrev_b32_e32 v3, 16, v3
	s_waitcnt lgkmcnt(0)
	v_lshlrev_b32_e32 v4, 16, v4
	v_add_f32_e32 v3, v4, v3
	v_bfe_u32 v4, v3, 16, 1
	v_add3_u32 v4, v3, v4, s2
	v_lshrrev_b32_e32 v4, 16, v4
	v_cmp_o_f32_e32 vcc, v3, v3
	v_cndmask_b32_e32 v3, v2, v4, vcc
	ds_write_b16 v1, v3
	s_branch .LBB43_27
.LBB43_30:
	v_cmp_eq_u32_e32 vcc, 0, v0
	s_and_saveexec_b64 s[0:1], vcc
	s_cbranch_execz .LBB43_32
; %bb.31:
	s_mul_i32 s0, s19, s33
	s_ashr_i32 s1, s0, 31
	s_lshl_b64 s[0:1], s[0:1], 1
	s_add_u32 s2, s34, s0
	s_mul_i32 s0, s8, s24
	s_addc_u32 s3, s35, s1
	s_ashr_i32 s1, s0, 31
	s_lshl_b64 s[0:1], s[0:1], 1
	s_add_u32 s2, s2, s0
	s_mul_i32 s0, s9, s20
	s_addc_u32 s3, s3, s1
	s_ashr_i32 s1, s0, 31
	s_lshl_b64 s[0:1], s[0:1], 1
	v_mov_b32_e32 v0, 0
	s_add_u32 s2, s2, s0
	s_mul_i32 s0, s10, s18
	ds_read_u16 v1, v0
	s_addc_u32 s3, s3, s1
	s_ashr_i32 s1, s0, 31
	s_lshl_b64 s[0:1], s[0:1], 1
	s_add_u32 s0, s2, s0
	s_addc_u32 s1, s3, s1
	s_waitcnt lgkmcnt(0)
	global_store_short v0, v1, s[0:1]
.LBB43_32:
	s_endpgm
.LBB43_33:
	s_trap 2
	; divergent unreachable
	s_cbranch_execz .LBB43_25
	s_branch .LBB43_32
	.section	.rodata,"a",@progbits
	.p2align	6, 0x0
	.amdhsa_kernel _ZN2at6native12_GLOBAL__N_144conv_depthwise3d_cuda_backward_weight_kernelIN3c108BFloat16EfLin1ELin1EEEvN5torch10headeronly6detail27GenericPackedTensorAccessorINS7_14TensorAccessorINS3_8ArrayRefIlEEKT_Lm4ENS6_16DefaultPtrTraitsEiEENS_6detail16IndexBoundsCheckILm5EiEESD_Lm5ESE_iEESJ_NS8_INS9_ISB_SC_Lm4ESE_iEESI_SC_Lm5ESE_iEEiiiiiiiii
		.amdhsa_group_segment_fixed_size 0
		.amdhsa_private_segment_fixed_size 0
		.amdhsa_kernarg_size 440
		.amdhsa_user_sgpr_count 6
		.amdhsa_user_sgpr_private_segment_buffer 1
		.amdhsa_user_sgpr_dispatch_ptr 0
		.amdhsa_user_sgpr_queue_ptr 0
		.amdhsa_user_sgpr_kernarg_segment_ptr 1
		.amdhsa_user_sgpr_dispatch_id 0
		.amdhsa_user_sgpr_flat_scratch_init 0
		.amdhsa_user_sgpr_kernarg_preload_length 0
		.amdhsa_user_sgpr_kernarg_preload_offset 0
		.amdhsa_user_sgpr_private_segment_size 0
		.amdhsa_uses_dynamic_stack 0
		.amdhsa_system_sgpr_private_segment_wavefront_offset 0
		.amdhsa_system_sgpr_workgroup_id_x 1
		.amdhsa_system_sgpr_workgroup_id_y 0
		.amdhsa_system_sgpr_workgroup_id_z 0
		.amdhsa_system_sgpr_workgroup_info 0
		.amdhsa_system_vgpr_workitem_id 0
		.amdhsa_next_free_vgpr 20
		.amdhsa_next_free_sgpr 52
		.amdhsa_accum_offset 20
		.amdhsa_reserve_vcc 1
		.amdhsa_reserve_flat_scratch 0
		.amdhsa_float_round_mode_32 0
		.amdhsa_float_round_mode_16_64 0
		.amdhsa_float_denorm_mode_32 3
		.amdhsa_float_denorm_mode_16_64 3
		.amdhsa_dx10_clamp 1
		.amdhsa_ieee_mode 1
		.amdhsa_fp16_overflow 0
		.amdhsa_tg_split 0
		.amdhsa_exception_fp_ieee_invalid_op 0
		.amdhsa_exception_fp_denorm_src 0
		.amdhsa_exception_fp_ieee_div_zero 0
		.amdhsa_exception_fp_ieee_overflow 0
		.amdhsa_exception_fp_ieee_underflow 0
		.amdhsa_exception_fp_ieee_inexact 0
		.amdhsa_exception_int_div_zero 0
	.end_amdhsa_kernel
	.section	.text._ZN2at6native12_GLOBAL__N_144conv_depthwise3d_cuda_backward_weight_kernelIN3c108BFloat16EfLin1ELin1EEEvN5torch10headeronly6detail27GenericPackedTensorAccessorINS7_14TensorAccessorINS3_8ArrayRefIlEEKT_Lm4ENS6_16DefaultPtrTraitsEiEENS_6detail16IndexBoundsCheckILm5EiEESD_Lm5ESE_iEESJ_NS8_INS9_ISB_SC_Lm4ESE_iEESI_SC_Lm5ESE_iEEiiiiiiiii,"axG",@progbits,_ZN2at6native12_GLOBAL__N_144conv_depthwise3d_cuda_backward_weight_kernelIN3c108BFloat16EfLin1ELin1EEEvN5torch10headeronly6detail27GenericPackedTensorAccessorINS7_14TensorAccessorINS3_8ArrayRefIlEEKT_Lm4ENS6_16DefaultPtrTraitsEiEENS_6detail16IndexBoundsCheckILm5EiEESD_Lm5ESE_iEESJ_NS8_INS9_ISB_SC_Lm4ESE_iEESI_SC_Lm5ESE_iEEiiiiiiiii,comdat
.Lfunc_end43:
	.size	_ZN2at6native12_GLOBAL__N_144conv_depthwise3d_cuda_backward_weight_kernelIN3c108BFloat16EfLin1ELin1EEEvN5torch10headeronly6detail27GenericPackedTensorAccessorINS7_14TensorAccessorINS3_8ArrayRefIlEEKT_Lm4ENS6_16DefaultPtrTraitsEiEENS_6detail16IndexBoundsCheckILm5EiEESD_Lm5ESE_iEESJ_NS8_INS9_ISB_SC_Lm4ESE_iEESI_SC_Lm5ESE_iEEiiiiiiiii, .Lfunc_end43-_ZN2at6native12_GLOBAL__N_144conv_depthwise3d_cuda_backward_weight_kernelIN3c108BFloat16EfLin1ELin1EEEvN5torch10headeronly6detail27GenericPackedTensorAccessorINS7_14TensorAccessorINS3_8ArrayRefIlEEKT_Lm4ENS6_16DefaultPtrTraitsEiEENS_6detail16IndexBoundsCheckILm5EiEESD_Lm5ESE_iEESJ_NS8_INS9_ISB_SC_Lm4ESE_iEESI_SC_Lm5ESE_iEEiiiiiiiii
                                        ; -- End function
	.section	.AMDGPU.csdata,"",@progbits
; Kernel info:
; codeLenInByte = 1900
; NumSgprs: 56
; NumVgprs: 20
; NumAgprs: 0
; TotalNumVgprs: 20
; ScratchSize: 0
; MemoryBound: 0
; FloatMode: 240
; IeeeMode: 1
; LDSByteSize: 0 bytes/workgroup (compile time only)
; SGPRBlocks: 6
; VGPRBlocks: 2
; NumSGPRsForWavesPerEU: 56
; NumVGPRsForWavesPerEU: 20
; AccumOffset: 20
; Occupancy: 8
; WaveLimiterHint : 1
; COMPUTE_PGM_RSRC2:SCRATCH_EN: 0
; COMPUTE_PGM_RSRC2:USER_SGPR: 6
; COMPUTE_PGM_RSRC2:TRAP_HANDLER: 0
; COMPUTE_PGM_RSRC2:TGID_X_EN: 1
; COMPUTE_PGM_RSRC2:TGID_Y_EN: 0
; COMPUTE_PGM_RSRC2:TGID_Z_EN: 0
; COMPUTE_PGM_RSRC2:TIDIG_COMP_CNT: 0
; COMPUTE_PGM_RSRC3_GFX90A:ACCUM_OFFSET: 4
; COMPUTE_PGM_RSRC3_GFX90A:TG_SPLIT: 0
	.text
	.p2alignl 6, 3212836864
	.fill 256, 4, 3212836864
	.type	__hip_cuid_f3efe7c9ae1d0a4d,@object ; @__hip_cuid_f3efe7c9ae1d0a4d
	.section	.bss,"aw",@nobits
	.globl	__hip_cuid_f3efe7c9ae1d0a4d
__hip_cuid_f3efe7c9ae1d0a4d:
	.byte	0                               ; 0x0
	.size	__hip_cuid_f3efe7c9ae1d0a4d, 1

	.ident	"AMD clang version 19.0.0git (https://github.com/RadeonOpenCompute/llvm-project roc-6.4.0 25133 c7fe45cf4b819c5991fe208aaa96edf142730f1d)"
	.section	".note.GNU-stack","",@progbits
	.addrsig
	.addrsig_sym __hip_cuid_f3efe7c9ae1d0a4d
	.amdgpu_metadata
---
amdhsa.kernels:
  - .agpr_count:     0
    .args:
      - .offset:         0
        .size:           48
        .value_kind:     by_value
      - .offset:         48
        .size:           48
        .value_kind:     by_value
      - .offset:         96
        .size:           48
        .value_kind:     by_value
      - .address_space:  global
        .offset:         144
        .size:           8
        .value_kind:     global_buffer
      - .offset:         152
        .size:           4
        .value_kind:     by_value
      - .offset:         156
        .size:           4
        .value_kind:     by_value
      - .offset:         160
        .size:           4
        .value_kind:     by_value
      - .offset:         164
        .size:           4
        .value_kind:     by_value
      - .offset:         168
        .size:           4
        .value_kind:     by_value
      - .offset:         172
        .size:           4
        .value_kind:     by_value
      - .offset:         176
        .size:           4
        .value_kind:     by_value
      - .offset:         180
        .size:           4
        .value_kind:     by_value
      - .offset:         184
        .size:           4
        .value_kind:     by_value
      - .offset:         192
        .size:           4
        .value_kind:     hidden_block_count_x
      - .offset:         196
        .size:           4
        .value_kind:     hidden_block_count_y
      - .offset:         200
        .size:           4
        .value_kind:     hidden_block_count_z
      - .offset:         204
        .size:           2
        .value_kind:     hidden_group_size_x
      - .offset:         206
        .size:           2
        .value_kind:     hidden_group_size_y
      - .offset:         208
        .size:           2
        .value_kind:     hidden_group_size_z
      - .offset:         210
        .size:           2
        .value_kind:     hidden_remainder_x
      - .offset:         212
        .size:           2
        .value_kind:     hidden_remainder_y
      - .offset:         214
        .size:           2
        .value_kind:     hidden_remainder_z
      - .offset:         232
        .size:           8
        .value_kind:     hidden_global_offset_x
      - .offset:         240
        .size:           8
        .value_kind:     hidden_global_offset_y
      - .offset:         248
        .size:           8
        .value_kind:     hidden_global_offset_z
      - .offset:         256
        .size:           2
        .value_kind:     hidden_grid_dims
    .group_segment_fixed_size: 0
    .kernarg_segment_align: 8
    .kernarg_segment_size: 448
    .language:       OpenCL C
    .language_version:
      - 2
      - 0
    .max_flat_workgroup_size: 1024
    .name:           _ZN2at6native12_GLOBAL__N_128conv_depthwise3d_cuda_kernelIddLi3ELi3ELi3ELi1ELi1ELi1EEEvN5torch10headeronly6detail27GenericPackedTensorAccessorINS5_14TensorAccessorIN3c108ArrayRefIlEEKT_Lm4ENS4_16DefaultPtrTraitsEiEENS_6detail16IndexBoundsCheckILm5EiEESC_Lm5ESD_iEENS6_INS7_ISA_SB_Lm4ESD_iEESH_SB_Lm5ESD_iEESI_PSC_iiiiiiiii
    .private_segment_fixed_size: 0
    .sgpr_count:     94
    .sgpr_spill_count: 0
    .symbol:         _ZN2at6native12_GLOBAL__N_128conv_depthwise3d_cuda_kernelIddLi3ELi3ELi3ELi1ELi1ELi1EEEvN5torch10headeronly6detail27GenericPackedTensorAccessorINS5_14TensorAccessorIN3c108ArrayRefIlEEKT_Lm4ENS4_16DefaultPtrTraitsEiEENS_6detail16IndexBoundsCheckILm5EiEESC_Lm5ESD_iEENS6_INS7_ISA_SB_Lm4ESD_iEESH_SB_Lm5ESD_iEESI_PSC_iiiiiiiii.kd
    .uniform_work_group_size: 1
    .uses_dynamic_stack: false
    .vgpr_count:     28
    .vgpr_spill_count: 0
    .wavefront_size: 64
  - .agpr_count:     0
    .args:
      - .offset:         0
        .size:           48
        .value_kind:     by_value
      - .offset:         48
        .size:           48
        .value_kind:     by_value
      - .offset:         96
        .size:           48
        .value_kind:     by_value
      - .address_space:  global
        .offset:         144
        .size:           8
        .value_kind:     global_buffer
      - .offset:         152
        .size:           4
        .value_kind:     by_value
      - .offset:         156
        .size:           4
        .value_kind:     by_value
      - .offset:         160
        .size:           4
        .value_kind:     by_value
      - .offset:         164
        .size:           4
        .value_kind:     by_value
      - .offset:         168
        .size:           4
        .value_kind:     by_value
      - .offset:         172
        .size:           4
        .value_kind:     by_value
      - .offset:         176
        .size:           4
        .value_kind:     by_value
      - .offset:         180
        .size:           4
        .value_kind:     by_value
      - .offset:         184
        .size:           4
        .value_kind:     by_value
      - .offset:         192
        .size:           4
        .value_kind:     hidden_block_count_x
      - .offset:         196
        .size:           4
        .value_kind:     hidden_block_count_y
      - .offset:         200
        .size:           4
        .value_kind:     hidden_block_count_z
      - .offset:         204
        .size:           2
        .value_kind:     hidden_group_size_x
      - .offset:         206
        .size:           2
        .value_kind:     hidden_group_size_y
      - .offset:         208
        .size:           2
        .value_kind:     hidden_group_size_z
      - .offset:         210
        .size:           2
        .value_kind:     hidden_remainder_x
      - .offset:         212
        .size:           2
        .value_kind:     hidden_remainder_y
      - .offset:         214
        .size:           2
        .value_kind:     hidden_remainder_z
      - .offset:         232
        .size:           8
        .value_kind:     hidden_global_offset_x
      - .offset:         240
        .size:           8
        .value_kind:     hidden_global_offset_y
      - .offset:         248
        .size:           8
        .value_kind:     hidden_global_offset_z
      - .offset:         256
        .size:           2
        .value_kind:     hidden_grid_dims
    .group_segment_fixed_size: 0
    .kernarg_segment_align: 8
    .kernarg_segment_size: 448
    .language:       OpenCL C
    .language_version:
      - 2
      - 0
    .max_flat_workgroup_size: 1024
    .name:           _ZN2at6native12_GLOBAL__N_128conv_depthwise3d_cuda_kernelIddLin1ELin1ELin1ELi1ELi1ELi1EEEvN5torch10headeronly6detail27GenericPackedTensorAccessorINS5_14TensorAccessorIN3c108ArrayRefIlEEKT_Lm4ENS4_16DefaultPtrTraitsEiEENS_6detail16IndexBoundsCheckILm5EiEESC_Lm5ESD_iEENS6_INS7_ISA_SB_Lm4ESD_iEESH_SB_Lm5ESD_iEESI_PSC_iiiiiiiii
    .private_segment_fixed_size: 0
    .sgpr_count:     82
    .sgpr_spill_count: 0
    .symbol:         _ZN2at6native12_GLOBAL__N_128conv_depthwise3d_cuda_kernelIddLin1ELin1ELin1ELi1ELi1ELi1EEEvN5torch10headeronly6detail27GenericPackedTensorAccessorINS5_14TensorAccessorIN3c108ArrayRefIlEEKT_Lm4ENS4_16DefaultPtrTraitsEiEENS_6detail16IndexBoundsCheckILm5EiEESC_Lm5ESD_iEENS6_INS7_ISA_SB_Lm4ESD_iEESH_SB_Lm5ESD_iEESI_PSC_iiiiiiiii.kd
    .uniform_work_group_size: 1
    .uses_dynamic_stack: false
    .vgpr_count:     28
    .vgpr_spill_count: 0
    .wavefront_size: 64
  - .agpr_count:     0
    .args:
      - .offset:         0
        .size:           48
        .value_kind:     by_value
      - .offset:         48
        .size:           48
        .value_kind:     by_value
      - .offset:         96
        .size:           48
        .value_kind:     by_value
      - .address_space:  global
        .offset:         144
        .size:           8
        .value_kind:     global_buffer
      - .offset:         152
        .size:           4
        .value_kind:     by_value
      - .offset:         156
        .size:           4
        .value_kind:     by_value
      - .offset:         160
        .size:           4
        .value_kind:     by_value
      - .offset:         164
        .size:           4
        .value_kind:     by_value
      - .offset:         168
        .size:           4
        .value_kind:     by_value
      - .offset:         172
        .size:           4
        .value_kind:     by_value
      - .offset:         176
        .size:           4
        .value_kind:     by_value
      - .offset:         180
        .size:           4
        .value_kind:     by_value
      - .offset:         184
        .size:           4
        .value_kind:     by_value
      - .offset:         192
        .size:           4
        .value_kind:     hidden_block_count_x
      - .offset:         196
        .size:           4
        .value_kind:     hidden_block_count_y
      - .offset:         200
        .size:           4
        .value_kind:     hidden_block_count_z
      - .offset:         204
        .size:           2
        .value_kind:     hidden_group_size_x
      - .offset:         206
        .size:           2
        .value_kind:     hidden_group_size_y
      - .offset:         208
        .size:           2
        .value_kind:     hidden_group_size_z
      - .offset:         210
        .size:           2
        .value_kind:     hidden_remainder_x
      - .offset:         212
        .size:           2
        .value_kind:     hidden_remainder_y
      - .offset:         214
        .size:           2
        .value_kind:     hidden_remainder_z
      - .offset:         232
        .size:           8
        .value_kind:     hidden_global_offset_x
      - .offset:         240
        .size:           8
        .value_kind:     hidden_global_offset_y
      - .offset:         248
        .size:           8
        .value_kind:     hidden_global_offset_z
      - .offset:         256
        .size:           2
        .value_kind:     hidden_grid_dims
    .group_segment_fixed_size: 0
    .kernarg_segment_align: 8
    .kernarg_segment_size: 448
    .language:       OpenCL C
    .language_version:
      - 2
      - 0
    .max_flat_workgroup_size: 1024
    .name:           _ZN2at6native12_GLOBAL__N_128conv_depthwise3d_cuda_kernelIddLin1ELin1ELin1ELin1ELin1ELin1EEEvN5torch10headeronly6detail27GenericPackedTensorAccessorINS5_14TensorAccessorIN3c108ArrayRefIlEEKT_Lm4ENS4_16DefaultPtrTraitsEiEENS_6detail16IndexBoundsCheckILm5EiEESC_Lm5ESD_iEENS6_INS7_ISA_SB_Lm4ESD_iEESH_SB_Lm5ESD_iEESI_PSC_iiiiiiiii
    .private_segment_fixed_size: 0
    .sgpr_count:     86
    .sgpr_spill_count: 0
    .symbol:         _ZN2at6native12_GLOBAL__N_128conv_depthwise3d_cuda_kernelIddLin1ELin1ELin1ELin1ELin1ELin1EEEvN5torch10headeronly6detail27GenericPackedTensorAccessorINS5_14TensorAccessorIN3c108ArrayRefIlEEKT_Lm4ENS4_16DefaultPtrTraitsEiEENS_6detail16IndexBoundsCheckILm5EiEESC_Lm5ESD_iEENS6_INS7_ISA_SB_Lm4ESD_iEESH_SB_Lm5ESD_iEESI_PSC_iiiiiiiii.kd
    .uniform_work_group_size: 1
    .uses_dynamic_stack: false
    .vgpr_count:     28
    .vgpr_spill_count: 0
    .wavefront_size: 64
  - .agpr_count:     0
    .args:
      - .offset:         0
        .size:           48
        .value_kind:     by_value
      - .offset:         48
        .size:           48
        .value_kind:     by_value
      - .offset:         96
        .size:           48
        .value_kind:     by_value
      - .address_space:  global
        .offset:         144
        .size:           8
        .value_kind:     global_buffer
      - .offset:         152
        .size:           4
        .value_kind:     by_value
      - .offset:         156
        .size:           4
        .value_kind:     by_value
      - .offset:         160
        .size:           4
        .value_kind:     by_value
      - .offset:         164
        .size:           4
        .value_kind:     by_value
      - .offset:         168
        .size:           4
        .value_kind:     by_value
      - .offset:         172
        .size:           4
        .value_kind:     by_value
      - .offset:         176
        .size:           4
        .value_kind:     by_value
      - .offset:         180
        .size:           4
        .value_kind:     by_value
      - .offset:         184
        .size:           4
        .value_kind:     by_value
      - .offset:         192
        .size:           4
        .value_kind:     hidden_block_count_x
      - .offset:         196
        .size:           4
        .value_kind:     hidden_block_count_y
      - .offset:         200
        .size:           4
        .value_kind:     hidden_block_count_z
      - .offset:         204
        .size:           2
        .value_kind:     hidden_group_size_x
      - .offset:         206
        .size:           2
        .value_kind:     hidden_group_size_y
      - .offset:         208
        .size:           2
        .value_kind:     hidden_group_size_z
      - .offset:         210
        .size:           2
        .value_kind:     hidden_remainder_x
      - .offset:         212
        .size:           2
        .value_kind:     hidden_remainder_y
      - .offset:         214
        .size:           2
        .value_kind:     hidden_remainder_z
      - .offset:         232
        .size:           8
        .value_kind:     hidden_global_offset_x
      - .offset:         240
        .size:           8
        .value_kind:     hidden_global_offset_y
      - .offset:         248
        .size:           8
        .value_kind:     hidden_global_offset_z
      - .offset:         256
        .size:           2
        .value_kind:     hidden_grid_dims
    .group_segment_fixed_size: 0
    .kernarg_segment_align: 8
    .kernarg_segment_size: 448
    .language:       OpenCL C
    .language_version:
      - 2
      - 0
    .max_flat_workgroup_size: 1024
    .name:           _ZN2at6native12_GLOBAL__N_128conv_depthwise3d_cuda_kernelIffLi3ELi3ELi3ELi1ELi1ELi1EEEvN5torch10headeronly6detail27GenericPackedTensorAccessorINS5_14TensorAccessorIN3c108ArrayRefIlEEKT_Lm4ENS4_16DefaultPtrTraitsEiEENS_6detail16IndexBoundsCheckILm5EiEESC_Lm5ESD_iEENS6_INS7_ISA_SB_Lm4ESD_iEESH_SB_Lm5ESD_iEESI_PSC_iiiiiiiii
    .private_segment_fixed_size: 0
    .sgpr_count:     94
    .sgpr_spill_count: 0
    .symbol:         _ZN2at6native12_GLOBAL__N_128conv_depthwise3d_cuda_kernelIffLi3ELi3ELi3ELi1ELi1ELi1EEEvN5torch10headeronly6detail27GenericPackedTensorAccessorINS5_14TensorAccessorIN3c108ArrayRefIlEEKT_Lm4ENS4_16DefaultPtrTraitsEiEENS_6detail16IndexBoundsCheckILm5EiEESC_Lm5ESD_iEENS6_INS7_ISA_SB_Lm4ESD_iEESH_SB_Lm5ESD_iEESI_PSC_iiiiiiiii.kd
    .uniform_work_group_size: 1
    .uses_dynamic_stack: false
    .vgpr_count:     25
    .vgpr_spill_count: 0
    .wavefront_size: 64
  - .agpr_count:     0
    .args:
      - .offset:         0
        .size:           48
        .value_kind:     by_value
      - .offset:         48
        .size:           48
        .value_kind:     by_value
      - .offset:         96
        .size:           48
        .value_kind:     by_value
      - .address_space:  global
        .offset:         144
        .size:           8
        .value_kind:     global_buffer
      - .offset:         152
        .size:           4
        .value_kind:     by_value
      - .offset:         156
        .size:           4
        .value_kind:     by_value
      - .offset:         160
        .size:           4
        .value_kind:     by_value
      - .offset:         164
        .size:           4
        .value_kind:     by_value
      - .offset:         168
        .size:           4
        .value_kind:     by_value
      - .offset:         172
        .size:           4
        .value_kind:     by_value
      - .offset:         176
        .size:           4
        .value_kind:     by_value
      - .offset:         180
        .size:           4
        .value_kind:     by_value
      - .offset:         184
        .size:           4
        .value_kind:     by_value
      - .offset:         192
        .size:           4
        .value_kind:     hidden_block_count_x
      - .offset:         196
        .size:           4
        .value_kind:     hidden_block_count_y
      - .offset:         200
        .size:           4
        .value_kind:     hidden_block_count_z
      - .offset:         204
        .size:           2
        .value_kind:     hidden_group_size_x
      - .offset:         206
        .size:           2
        .value_kind:     hidden_group_size_y
      - .offset:         208
        .size:           2
        .value_kind:     hidden_group_size_z
      - .offset:         210
        .size:           2
        .value_kind:     hidden_remainder_x
      - .offset:         212
        .size:           2
        .value_kind:     hidden_remainder_y
      - .offset:         214
        .size:           2
        .value_kind:     hidden_remainder_z
      - .offset:         232
        .size:           8
        .value_kind:     hidden_global_offset_x
      - .offset:         240
        .size:           8
        .value_kind:     hidden_global_offset_y
      - .offset:         248
        .size:           8
        .value_kind:     hidden_global_offset_z
      - .offset:         256
        .size:           2
        .value_kind:     hidden_grid_dims
    .group_segment_fixed_size: 0
    .kernarg_segment_align: 8
    .kernarg_segment_size: 448
    .language:       OpenCL C
    .language_version:
      - 2
      - 0
    .max_flat_workgroup_size: 1024
    .name:           _ZN2at6native12_GLOBAL__N_128conv_depthwise3d_cuda_kernelIffLin1ELin1ELin1ELi1ELi1ELi1EEEvN5torch10headeronly6detail27GenericPackedTensorAccessorINS5_14TensorAccessorIN3c108ArrayRefIlEEKT_Lm4ENS4_16DefaultPtrTraitsEiEENS_6detail16IndexBoundsCheckILm5EiEESC_Lm5ESD_iEENS6_INS7_ISA_SB_Lm4ESD_iEESH_SB_Lm5ESD_iEESI_PSC_iiiiiiiii
    .private_segment_fixed_size: 0
    .sgpr_count:     82
    .sgpr_spill_count: 0
    .symbol:         _ZN2at6native12_GLOBAL__N_128conv_depthwise3d_cuda_kernelIffLin1ELin1ELin1ELi1ELi1ELi1EEEvN5torch10headeronly6detail27GenericPackedTensorAccessorINS5_14TensorAccessorIN3c108ArrayRefIlEEKT_Lm4ENS4_16DefaultPtrTraitsEiEENS_6detail16IndexBoundsCheckILm5EiEESC_Lm5ESD_iEENS6_INS7_ISA_SB_Lm4ESD_iEESH_SB_Lm5ESD_iEESI_PSC_iiiiiiiii.kd
    .uniform_work_group_size: 1
    .uses_dynamic_stack: false
    .vgpr_count:     24
    .vgpr_spill_count: 0
    .wavefront_size: 64
  - .agpr_count:     0
    .args:
      - .offset:         0
        .size:           48
        .value_kind:     by_value
      - .offset:         48
        .size:           48
        .value_kind:     by_value
      - .offset:         96
        .size:           48
        .value_kind:     by_value
      - .address_space:  global
        .offset:         144
        .size:           8
        .value_kind:     global_buffer
      - .offset:         152
        .size:           4
        .value_kind:     by_value
      - .offset:         156
        .size:           4
        .value_kind:     by_value
      - .offset:         160
        .size:           4
        .value_kind:     by_value
      - .offset:         164
        .size:           4
        .value_kind:     by_value
      - .offset:         168
        .size:           4
        .value_kind:     by_value
      - .offset:         172
        .size:           4
        .value_kind:     by_value
      - .offset:         176
        .size:           4
        .value_kind:     by_value
      - .offset:         180
        .size:           4
        .value_kind:     by_value
      - .offset:         184
        .size:           4
        .value_kind:     by_value
      - .offset:         192
        .size:           4
        .value_kind:     hidden_block_count_x
      - .offset:         196
        .size:           4
        .value_kind:     hidden_block_count_y
      - .offset:         200
        .size:           4
        .value_kind:     hidden_block_count_z
      - .offset:         204
        .size:           2
        .value_kind:     hidden_group_size_x
      - .offset:         206
        .size:           2
        .value_kind:     hidden_group_size_y
      - .offset:         208
        .size:           2
        .value_kind:     hidden_group_size_z
      - .offset:         210
        .size:           2
        .value_kind:     hidden_remainder_x
      - .offset:         212
        .size:           2
        .value_kind:     hidden_remainder_y
      - .offset:         214
        .size:           2
        .value_kind:     hidden_remainder_z
      - .offset:         232
        .size:           8
        .value_kind:     hidden_global_offset_x
      - .offset:         240
        .size:           8
        .value_kind:     hidden_global_offset_y
      - .offset:         248
        .size:           8
        .value_kind:     hidden_global_offset_z
      - .offset:         256
        .size:           2
        .value_kind:     hidden_grid_dims
    .group_segment_fixed_size: 0
    .kernarg_segment_align: 8
    .kernarg_segment_size: 448
    .language:       OpenCL C
    .language_version:
      - 2
      - 0
    .max_flat_workgroup_size: 1024
    .name:           _ZN2at6native12_GLOBAL__N_128conv_depthwise3d_cuda_kernelIffLin1ELin1ELin1ELin1ELin1ELin1EEEvN5torch10headeronly6detail27GenericPackedTensorAccessorINS5_14TensorAccessorIN3c108ArrayRefIlEEKT_Lm4ENS4_16DefaultPtrTraitsEiEENS_6detail16IndexBoundsCheckILm5EiEESC_Lm5ESD_iEENS6_INS7_ISA_SB_Lm4ESD_iEESH_SB_Lm5ESD_iEESI_PSC_iiiiiiiii
    .private_segment_fixed_size: 0
    .sgpr_count:     86
    .sgpr_spill_count: 0
    .symbol:         _ZN2at6native12_GLOBAL__N_128conv_depthwise3d_cuda_kernelIffLin1ELin1ELin1ELin1ELin1ELin1EEEvN5torch10headeronly6detail27GenericPackedTensorAccessorINS5_14TensorAccessorIN3c108ArrayRefIlEEKT_Lm4ENS4_16DefaultPtrTraitsEiEENS_6detail16IndexBoundsCheckILm5EiEESC_Lm5ESD_iEENS6_INS7_ISA_SB_Lm4ESD_iEESH_SB_Lm5ESD_iEESI_PSC_iiiiiiiii.kd
    .uniform_work_group_size: 1
    .uses_dynamic_stack: false
    .vgpr_count:     24
    .vgpr_spill_count: 0
    .wavefront_size: 64
  - .agpr_count:     0
    .args:
      - .offset:         0
        .size:           48
        .value_kind:     by_value
      - .offset:         48
        .size:           48
        .value_kind:     by_value
      - .offset:         96
        .size:           48
        .value_kind:     by_value
      - .address_space:  global
        .offset:         144
        .size:           8
        .value_kind:     global_buffer
      - .offset:         152
        .size:           4
        .value_kind:     by_value
      - .offset:         156
        .size:           4
        .value_kind:     by_value
      - .offset:         160
        .size:           4
        .value_kind:     by_value
      - .offset:         164
        .size:           4
        .value_kind:     by_value
      - .offset:         168
        .size:           4
        .value_kind:     by_value
      - .offset:         172
        .size:           4
        .value_kind:     by_value
      - .offset:         176
        .size:           4
        .value_kind:     by_value
      - .offset:         180
        .size:           4
        .value_kind:     by_value
      - .offset:         184
        .size:           4
        .value_kind:     by_value
      - .offset:         192
        .size:           4
        .value_kind:     hidden_block_count_x
      - .offset:         196
        .size:           4
        .value_kind:     hidden_block_count_y
      - .offset:         200
        .size:           4
        .value_kind:     hidden_block_count_z
      - .offset:         204
        .size:           2
        .value_kind:     hidden_group_size_x
      - .offset:         206
        .size:           2
        .value_kind:     hidden_group_size_y
      - .offset:         208
        .size:           2
        .value_kind:     hidden_group_size_z
      - .offset:         210
        .size:           2
        .value_kind:     hidden_remainder_x
      - .offset:         212
        .size:           2
        .value_kind:     hidden_remainder_y
      - .offset:         214
        .size:           2
        .value_kind:     hidden_remainder_z
      - .offset:         232
        .size:           8
        .value_kind:     hidden_global_offset_x
      - .offset:         240
        .size:           8
        .value_kind:     hidden_global_offset_y
      - .offset:         248
        .size:           8
        .value_kind:     hidden_global_offset_z
      - .offset:         256
        .size:           2
        .value_kind:     hidden_grid_dims
    .group_segment_fixed_size: 0
    .kernarg_segment_align: 8
    .kernarg_segment_size: 448
    .language:       OpenCL C
    .language_version:
      - 2
      - 0
    .max_flat_workgroup_size: 1024
    .name:           _ZN2at6native12_GLOBAL__N_128conv_depthwise3d_cuda_kernelIN3c104HalfEfLi3ELi3ELi3ELi1ELi1ELi1EEEvN5torch10headeronly6detail27GenericPackedTensorAccessorINS7_14TensorAccessorINS3_8ArrayRefIlEEKT_Lm4ENS6_16DefaultPtrTraitsEiEENS_6detail16IndexBoundsCheckILm5EiEESD_Lm5ESE_iEENS8_INS9_ISB_SC_Lm4ESE_iEESI_SC_Lm5ESE_iEESJ_PSD_iiiiiiiii
    .private_segment_fixed_size: 0
    .sgpr_count:     94
    .sgpr_spill_count: 0
    .symbol:         _ZN2at6native12_GLOBAL__N_128conv_depthwise3d_cuda_kernelIN3c104HalfEfLi3ELi3ELi3ELi1ELi1ELi1EEEvN5torch10headeronly6detail27GenericPackedTensorAccessorINS7_14TensorAccessorINS3_8ArrayRefIlEEKT_Lm4ENS6_16DefaultPtrTraitsEiEENS_6detail16IndexBoundsCheckILm5EiEESD_Lm5ESE_iEENS8_INS9_ISB_SC_Lm4ESE_iEESI_SC_Lm5ESE_iEESJ_PSD_iiiiiiiii.kd
    .uniform_work_group_size: 1
    .uses_dynamic_stack: false
    .vgpr_count:     25
    .vgpr_spill_count: 0
    .wavefront_size: 64
  - .agpr_count:     0
    .args:
      - .offset:         0
        .size:           48
        .value_kind:     by_value
      - .offset:         48
        .size:           48
        .value_kind:     by_value
      - .offset:         96
        .size:           48
        .value_kind:     by_value
      - .address_space:  global
        .offset:         144
        .size:           8
        .value_kind:     global_buffer
      - .offset:         152
        .size:           4
        .value_kind:     by_value
      - .offset:         156
        .size:           4
        .value_kind:     by_value
      - .offset:         160
        .size:           4
        .value_kind:     by_value
      - .offset:         164
        .size:           4
        .value_kind:     by_value
      - .offset:         168
        .size:           4
        .value_kind:     by_value
      - .offset:         172
        .size:           4
        .value_kind:     by_value
      - .offset:         176
        .size:           4
        .value_kind:     by_value
      - .offset:         180
        .size:           4
        .value_kind:     by_value
      - .offset:         184
        .size:           4
        .value_kind:     by_value
      - .offset:         192
        .size:           4
        .value_kind:     hidden_block_count_x
      - .offset:         196
        .size:           4
        .value_kind:     hidden_block_count_y
      - .offset:         200
        .size:           4
        .value_kind:     hidden_block_count_z
      - .offset:         204
        .size:           2
        .value_kind:     hidden_group_size_x
      - .offset:         206
        .size:           2
        .value_kind:     hidden_group_size_y
      - .offset:         208
        .size:           2
        .value_kind:     hidden_group_size_z
      - .offset:         210
        .size:           2
        .value_kind:     hidden_remainder_x
      - .offset:         212
        .size:           2
        .value_kind:     hidden_remainder_y
      - .offset:         214
        .size:           2
        .value_kind:     hidden_remainder_z
      - .offset:         232
        .size:           8
        .value_kind:     hidden_global_offset_x
      - .offset:         240
        .size:           8
        .value_kind:     hidden_global_offset_y
      - .offset:         248
        .size:           8
        .value_kind:     hidden_global_offset_z
      - .offset:         256
        .size:           2
        .value_kind:     hidden_grid_dims
    .group_segment_fixed_size: 0
    .kernarg_segment_align: 8
    .kernarg_segment_size: 448
    .language:       OpenCL C
    .language_version:
      - 2
      - 0
    .max_flat_workgroup_size: 1024
    .name:           _ZN2at6native12_GLOBAL__N_128conv_depthwise3d_cuda_kernelIN3c104HalfEfLin1ELin1ELin1ELi1ELi1ELi1EEEvN5torch10headeronly6detail27GenericPackedTensorAccessorINS7_14TensorAccessorINS3_8ArrayRefIlEEKT_Lm4ENS6_16DefaultPtrTraitsEiEENS_6detail16IndexBoundsCheckILm5EiEESD_Lm5ESE_iEENS8_INS9_ISB_SC_Lm4ESE_iEESI_SC_Lm5ESE_iEESJ_PSD_iiiiiiiii
    .private_segment_fixed_size: 0
    .sgpr_count:     82
    .sgpr_spill_count: 0
    .symbol:         _ZN2at6native12_GLOBAL__N_128conv_depthwise3d_cuda_kernelIN3c104HalfEfLin1ELin1ELin1ELi1ELi1ELi1EEEvN5torch10headeronly6detail27GenericPackedTensorAccessorINS7_14TensorAccessorINS3_8ArrayRefIlEEKT_Lm4ENS6_16DefaultPtrTraitsEiEENS_6detail16IndexBoundsCheckILm5EiEESD_Lm5ESE_iEENS8_INS9_ISB_SC_Lm4ESE_iEESI_SC_Lm5ESE_iEESJ_PSD_iiiiiiiii.kd
    .uniform_work_group_size: 1
    .uses_dynamic_stack: false
    .vgpr_count:     24
    .vgpr_spill_count: 0
    .wavefront_size: 64
  - .agpr_count:     0
    .args:
      - .offset:         0
        .size:           48
        .value_kind:     by_value
      - .offset:         48
        .size:           48
        .value_kind:     by_value
      - .offset:         96
        .size:           48
        .value_kind:     by_value
      - .address_space:  global
        .offset:         144
        .size:           8
        .value_kind:     global_buffer
      - .offset:         152
        .size:           4
        .value_kind:     by_value
      - .offset:         156
        .size:           4
        .value_kind:     by_value
      - .offset:         160
        .size:           4
        .value_kind:     by_value
      - .offset:         164
        .size:           4
        .value_kind:     by_value
      - .offset:         168
        .size:           4
        .value_kind:     by_value
      - .offset:         172
        .size:           4
        .value_kind:     by_value
      - .offset:         176
        .size:           4
        .value_kind:     by_value
      - .offset:         180
        .size:           4
        .value_kind:     by_value
      - .offset:         184
        .size:           4
        .value_kind:     by_value
      - .offset:         192
        .size:           4
        .value_kind:     hidden_block_count_x
      - .offset:         196
        .size:           4
        .value_kind:     hidden_block_count_y
      - .offset:         200
        .size:           4
        .value_kind:     hidden_block_count_z
      - .offset:         204
        .size:           2
        .value_kind:     hidden_group_size_x
      - .offset:         206
        .size:           2
        .value_kind:     hidden_group_size_y
      - .offset:         208
        .size:           2
        .value_kind:     hidden_group_size_z
      - .offset:         210
        .size:           2
        .value_kind:     hidden_remainder_x
      - .offset:         212
        .size:           2
        .value_kind:     hidden_remainder_y
      - .offset:         214
        .size:           2
        .value_kind:     hidden_remainder_z
      - .offset:         232
        .size:           8
        .value_kind:     hidden_global_offset_x
      - .offset:         240
        .size:           8
        .value_kind:     hidden_global_offset_y
      - .offset:         248
        .size:           8
        .value_kind:     hidden_global_offset_z
      - .offset:         256
        .size:           2
        .value_kind:     hidden_grid_dims
    .group_segment_fixed_size: 0
    .kernarg_segment_align: 8
    .kernarg_segment_size: 448
    .language:       OpenCL C
    .language_version:
      - 2
      - 0
    .max_flat_workgroup_size: 1024
    .name:           _ZN2at6native12_GLOBAL__N_128conv_depthwise3d_cuda_kernelIN3c104HalfEfLin1ELin1ELin1ELin1ELin1ELin1EEEvN5torch10headeronly6detail27GenericPackedTensorAccessorINS7_14TensorAccessorINS3_8ArrayRefIlEEKT_Lm4ENS6_16DefaultPtrTraitsEiEENS_6detail16IndexBoundsCheckILm5EiEESD_Lm5ESE_iEENS8_INS9_ISB_SC_Lm4ESE_iEESI_SC_Lm5ESE_iEESJ_PSD_iiiiiiiii
    .private_segment_fixed_size: 0
    .sgpr_count:     86
    .sgpr_spill_count: 0
    .symbol:         _ZN2at6native12_GLOBAL__N_128conv_depthwise3d_cuda_kernelIN3c104HalfEfLin1ELin1ELin1ELin1ELin1ELin1EEEvN5torch10headeronly6detail27GenericPackedTensorAccessorINS7_14TensorAccessorINS3_8ArrayRefIlEEKT_Lm4ENS6_16DefaultPtrTraitsEiEENS_6detail16IndexBoundsCheckILm5EiEESD_Lm5ESE_iEENS8_INS9_ISB_SC_Lm4ESE_iEESI_SC_Lm5ESE_iEESJ_PSD_iiiiiiiii.kd
    .uniform_work_group_size: 1
    .uses_dynamic_stack: false
    .vgpr_count:     24
    .vgpr_spill_count: 0
    .wavefront_size: 64
  - .agpr_count:     0
    .args:
      - .offset:         0
        .size:           48
        .value_kind:     by_value
      - .offset:         48
        .size:           48
        .value_kind:     by_value
      - .offset:         96
        .size:           48
        .value_kind:     by_value
      - .address_space:  global
        .offset:         144
        .size:           8
        .value_kind:     global_buffer
      - .offset:         152
        .size:           4
        .value_kind:     by_value
      - .offset:         156
        .size:           4
        .value_kind:     by_value
      - .offset:         160
        .size:           4
        .value_kind:     by_value
      - .offset:         164
        .size:           4
        .value_kind:     by_value
      - .offset:         168
        .size:           4
        .value_kind:     by_value
      - .offset:         172
        .size:           4
        .value_kind:     by_value
      - .offset:         176
        .size:           4
        .value_kind:     by_value
      - .offset:         180
        .size:           4
        .value_kind:     by_value
      - .offset:         184
        .size:           4
        .value_kind:     by_value
      - .offset:         192
        .size:           4
        .value_kind:     hidden_block_count_x
      - .offset:         196
        .size:           4
        .value_kind:     hidden_block_count_y
      - .offset:         200
        .size:           4
        .value_kind:     hidden_block_count_z
      - .offset:         204
        .size:           2
        .value_kind:     hidden_group_size_x
      - .offset:         206
        .size:           2
        .value_kind:     hidden_group_size_y
      - .offset:         208
        .size:           2
        .value_kind:     hidden_group_size_z
      - .offset:         210
        .size:           2
        .value_kind:     hidden_remainder_x
      - .offset:         212
        .size:           2
        .value_kind:     hidden_remainder_y
      - .offset:         214
        .size:           2
        .value_kind:     hidden_remainder_z
      - .offset:         232
        .size:           8
        .value_kind:     hidden_global_offset_x
      - .offset:         240
        .size:           8
        .value_kind:     hidden_global_offset_y
      - .offset:         248
        .size:           8
        .value_kind:     hidden_global_offset_z
      - .offset:         256
        .size:           2
        .value_kind:     hidden_grid_dims
    .group_segment_fixed_size: 0
    .kernarg_segment_align: 8
    .kernarg_segment_size: 448
    .language:       OpenCL C
    .language_version:
      - 2
      - 0
    .max_flat_workgroup_size: 1024
    .name:           _ZN2at6native12_GLOBAL__N_128conv_depthwise3d_cuda_kernelIN3c108BFloat16EfLi3ELi3ELi3ELi1ELi1ELi1EEEvN5torch10headeronly6detail27GenericPackedTensorAccessorINS7_14TensorAccessorINS3_8ArrayRefIlEEKT_Lm4ENS6_16DefaultPtrTraitsEiEENS_6detail16IndexBoundsCheckILm5EiEESD_Lm5ESE_iEENS8_INS9_ISB_SC_Lm4ESE_iEESI_SC_Lm5ESE_iEESJ_PSD_iiiiiiiii
    .private_segment_fixed_size: 0
    .sgpr_count:     94
    .sgpr_spill_count: 0
    .symbol:         _ZN2at6native12_GLOBAL__N_128conv_depthwise3d_cuda_kernelIN3c108BFloat16EfLi3ELi3ELi3ELi1ELi1ELi1EEEvN5torch10headeronly6detail27GenericPackedTensorAccessorINS7_14TensorAccessorINS3_8ArrayRefIlEEKT_Lm4ENS6_16DefaultPtrTraitsEiEENS_6detail16IndexBoundsCheckILm5EiEESD_Lm5ESE_iEENS8_INS9_ISB_SC_Lm4ESE_iEESI_SC_Lm5ESE_iEESJ_PSD_iiiiiiiii.kd
    .uniform_work_group_size: 1
    .uses_dynamic_stack: false
    .vgpr_count:     26
    .vgpr_spill_count: 0
    .wavefront_size: 64
  - .agpr_count:     0
    .args:
      - .offset:         0
        .size:           48
        .value_kind:     by_value
      - .offset:         48
        .size:           48
        .value_kind:     by_value
      - .offset:         96
        .size:           48
        .value_kind:     by_value
      - .address_space:  global
        .offset:         144
        .size:           8
        .value_kind:     global_buffer
      - .offset:         152
        .size:           4
        .value_kind:     by_value
      - .offset:         156
        .size:           4
        .value_kind:     by_value
      - .offset:         160
        .size:           4
        .value_kind:     by_value
      - .offset:         164
        .size:           4
        .value_kind:     by_value
      - .offset:         168
        .size:           4
        .value_kind:     by_value
      - .offset:         172
        .size:           4
        .value_kind:     by_value
      - .offset:         176
        .size:           4
        .value_kind:     by_value
      - .offset:         180
        .size:           4
        .value_kind:     by_value
      - .offset:         184
        .size:           4
        .value_kind:     by_value
      - .offset:         192
        .size:           4
        .value_kind:     hidden_block_count_x
      - .offset:         196
        .size:           4
        .value_kind:     hidden_block_count_y
      - .offset:         200
        .size:           4
        .value_kind:     hidden_block_count_z
      - .offset:         204
        .size:           2
        .value_kind:     hidden_group_size_x
      - .offset:         206
        .size:           2
        .value_kind:     hidden_group_size_y
      - .offset:         208
        .size:           2
        .value_kind:     hidden_group_size_z
      - .offset:         210
        .size:           2
        .value_kind:     hidden_remainder_x
      - .offset:         212
        .size:           2
        .value_kind:     hidden_remainder_y
      - .offset:         214
        .size:           2
        .value_kind:     hidden_remainder_z
      - .offset:         232
        .size:           8
        .value_kind:     hidden_global_offset_x
      - .offset:         240
        .size:           8
        .value_kind:     hidden_global_offset_y
      - .offset:         248
        .size:           8
        .value_kind:     hidden_global_offset_z
      - .offset:         256
        .size:           2
        .value_kind:     hidden_grid_dims
    .group_segment_fixed_size: 0
    .kernarg_segment_align: 8
    .kernarg_segment_size: 448
    .language:       OpenCL C
    .language_version:
      - 2
      - 0
    .max_flat_workgroup_size: 1024
    .name:           _ZN2at6native12_GLOBAL__N_128conv_depthwise3d_cuda_kernelIN3c108BFloat16EfLin1ELin1ELin1ELi1ELi1ELi1EEEvN5torch10headeronly6detail27GenericPackedTensorAccessorINS7_14TensorAccessorINS3_8ArrayRefIlEEKT_Lm4ENS6_16DefaultPtrTraitsEiEENS_6detail16IndexBoundsCheckILm5EiEESD_Lm5ESE_iEENS8_INS9_ISB_SC_Lm4ESE_iEESI_SC_Lm5ESE_iEESJ_PSD_iiiiiiiii
    .private_segment_fixed_size: 0
    .sgpr_count:     82
    .sgpr_spill_count: 0
    .symbol:         _ZN2at6native12_GLOBAL__N_128conv_depthwise3d_cuda_kernelIN3c108BFloat16EfLin1ELin1ELin1ELi1ELi1ELi1EEEvN5torch10headeronly6detail27GenericPackedTensorAccessorINS7_14TensorAccessorINS3_8ArrayRefIlEEKT_Lm4ENS6_16DefaultPtrTraitsEiEENS_6detail16IndexBoundsCheckILm5EiEESD_Lm5ESE_iEENS8_INS9_ISB_SC_Lm4ESE_iEESI_SC_Lm5ESE_iEESJ_PSD_iiiiiiiii.kd
    .uniform_work_group_size: 1
    .uses_dynamic_stack: false
    .vgpr_count:     25
    .vgpr_spill_count: 0
    .wavefront_size: 64
  - .agpr_count:     0
    .args:
      - .offset:         0
        .size:           48
        .value_kind:     by_value
      - .offset:         48
        .size:           48
        .value_kind:     by_value
      - .offset:         96
        .size:           48
        .value_kind:     by_value
      - .address_space:  global
        .offset:         144
        .size:           8
        .value_kind:     global_buffer
      - .offset:         152
        .size:           4
        .value_kind:     by_value
      - .offset:         156
        .size:           4
        .value_kind:     by_value
      - .offset:         160
        .size:           4
        .value_kind:     by_value
      - .offset:         164
        .size:           4
        .value_kind:     by_value
      - .offset:         168
        .size:           4
        .value_kind:     by_value
      - .offset:         172
        .size:           4
        .value_kind:     by_value
      - .offset:         176
        .size:           4
        .value_kind:     by_value
      - .offset:         180
        .size:           4
        .value_kind:     by_value
      - .offset:         184
        .size:           4
        .value_kind:     by_value
      - .offset:         192
        .size:           4
        .value_kind:     hidden_block_count_x
      - .offset:         196
        .size:           4
        .value_kind:     hidden_block_count_y
      - .offset:         200
        .size:           4
        .value_kind:     hidden_block_count_z
      - .offset:         204
        .size:           2
        .value_kind:     hidden_group_size_x
      - .offset:         206
        .size:           2
        .value_kind:     hidden_group_size_y
      - .offset:         208
        .size:           2
        .value_kind:     hidden_group_size_z
      - .offset:         210
        .size:           2
        .value_kind:     hidden_remainder_x
      - .offset:         212
        .size:           2
        .value_kind:     hidden_remainder_y
      - .offset:         214
        .size:           2
        .value_kind:     hidden_remainder_z
      - .offset:         232
        .size:           8
        .value_kind:     hidden_global_offset_x
      - .offset:         240
        .size:           8
        .value_kind:     hidden_global_offset_y
      - .offset:         248
        .size:           8
        .value_kind:     hidden_global_offset_z
      - .offset:         256
        .size:           2
        .value_kind:     hidden_grid_dims
    .group_segment_fixed_size: 0
    .kernarg_segment_align: 8
    .kernarg_segment_size: 448
    .language:       OpenCL C
    .language_version:
      - 2
      - 0
    .max_flat_workgroup_size: 1024
    .name:           _ZN2at6native12_GLOBAL__N_128conv_depthwise3d_cuda_kernelIN3c108BFloat16EfLin1ELin1ELin1ELin1ELin1ELin1EEEvN5torch10headeronly6detail27GenericPackedTensorAccessorINS7_14TensorAccessorINS3_8ArrayRefIlEEKT_Lm4ENS6_16DefaultPtrTraitsEiEENS_6detail16IndexBoundsCheckILm5EiEESD_Lm5ESE_iEENS8_INS9_ISB_SC_Lm4ESE_iEESI_SC_Lm5ESE_iEESJ_PSD_iiiiiiiii
    .private_segment_fixed_size: 0
    .sgpr_count:     88
    .sgpr_spill_count: 0
    .symbol:         _ZN2at6native12_GLOBAL__N_128conv_depthwise3d_cuda_kernelIN3c108BFloat16EfLin1ELin1ELin1ELin1ELin1ELin1EEEvN5torch10headeronly6detail27GenericPackedTensorAccessorINS7_14TensorAccessorINS3_8ArrayRefIlEEKT_Lm4ENS6_16DefaultPtrTraitsEiEENS_6detail16IndexBoundsCheckILm5EiEESD_Lm5ESE_iEENS8_INS9_ISB_SC_Lm4ESE_iEESI_SC_Lm5ESE_iEESJ_PSD_iiiiiiiii.kd
    .uniform_work_group_size: 1
    .uses_dynamic_stack: false
    .vgpr_count:     25
    .vgpr_spill_count: 0
    .wavefront_size: 64
  - .agpr_count:     0
    .args:
      - .offset:         0
        .size:           48
        .value_kind:     by_value
      - .offset:         48
        .size:           48
        .value_kind:     by_value
      - .offset:         96
        .size:           48
        .value_kind:     by_value
      - .offset:         144
        .size:           4
        .value_kind:     by_value
      - .offset:         148
        .size:           4
        .value_kind:     by_value
      - .offset:         152
        .size:           4
        .value_kind:     by_value
      - .offset:         156
        .size:           4
        .value_kind:     by_value
      - .offset:         160
        .size:           4
        .value_kind:     by_value
      - .offset:         164
        .size:           4
        .value_kind:     by_value
      - .offset:         168
        .size:           4
        .value_kind:     by_value
      - .offset:         172
        .size:           4
        .value_kind:     by_value
      - .offset:         176
        .size:           4
        .value_kind:     by_value
      - .offset:         184
        .size:           4
        .value_kind:     hidden_block_count_x
      - .offset:         188
        .size:           4
        .value_kind:     hidden_block_count_y
      - .offset:         192
        .size:           4
        .value_kind:     hidden_block_count_z
      - .offset:         196
        .size:           2
        .value_kind:     hidden_group_size_x
      - .offset:         198
        .size:           2
        .value_kind:     hidden_group_size_y
      - .offset:         200
        .size:           2
        .value_kind:     hidden_group_size_z
      - .offset:         202
        .size:           2
        .value_kind:     hidden_remainder_x
      - .offset:         204
        .size:           2
        .value_kind:     hidden_remainder_y
      - .offset:         206
        .size:           2
        .value_kind:     hidden_remainder_z
      - .offset:         224
        .size:           8
        .value_kind:     hidden_global_offset_x
      - .offset:         232
        .size:           8
        .value_kind:     hidden_global_offset_y
      - .offset:         240
        .size:           8
        .value_kind:     hidden_global_offset_z
      - .offset:         248
        .size:           2
        .value_kind:     hidden_grid_dims
    .group_segment_fixed_size: 0
    .kernarg_segment_align: 8
    .kernarg_segment_size: 440
    .language:       OpenCL C
    .language_version:
      - 2
      - 0
    .max_flat_workgroup_size: 1024
    .name:           _ZN2at6native12_GLOBAL__N_143conv_depthwise3d_cuda_backward_input_kernelIddLi3ELi3ELi3ELi1ELi1ELi1ELi1ELi1ELi1EEEvN5torch10headeronly6detail27GenericPackedTensorAccessorINS5_14TensorAccessorIN3c108ArrayRefIlEEKT_Lm4ENS4_16DefaultPtrTraitsEiEENS_6detail16IndexBoundsCheckILm5EiEESC_Lm5ESD_iEENS6_INS7_ISA_SB_Lm4ESD_iEESH_SB_Lm5ESD_iEESI_iiiiiiiii
    .private_segment_fixed_size: 232
    .sgpr_count:     104
    .sgpr_spill_count: 9
    .symbol:         _ZN2at6native12_GLOBAL__N_143conv_depthwise3d_cuda_backward_input_kernelIddLi3ELi3ELi3ELi1ELi1ELi1ELi1ELi1ELi1EEEvN5torch10headeronly6detail27GenericPackedTensorAccessorINS5_14TensorAccessorIN3c108ArrayRefIlEEKT_Lm4ENS4_16DefaultPtrTraitsEiEENS_6detail16IndexBoundsCheckILm5EiEESC_Lm5ESD_iEENS6_INS7_ISA_SB_Lm4ESD_iEESH_SB_Lm5ESD_iEESI_iiiiiiiii.kd
    .uniform_work_group_size: 1
    .uses_dynamic_stack: false
    .vgpr_count:     128
    .vgpr_spill_count: 57
    .wavefront_size: 64
  - .agpr_count:     0
    .args:
      - .offset:         0
        .size:           48
        .value_kind:     by_value
      - .offset:         48
        .size:           48
        .value_kind:     by_value
      - .offset:         96
        .size:           48
        .value_kind:     by_value
      - .offset:         144
        .size:           4
        .value_kind:     by_value
      - .offset:         148
        .size:           4
        .value_kind:     by_value
      - .offset:         152
        .size:           4
        .value_kind:     by_value
      - .offset:         156
        .size:           4
        .value_kind:     by_value
      - .offset:         160
        .size:           4
        .value_kind:     by_value
      - .offset:         164
        .size:           4
        .value_kind:     by_value
      - .offset:         168
        .size:           4
        .value_kind:     by_value
      - .offset:         172
        .size:           4
        .value_kind:     by_value
      - .offset:         176
        .size:           4
        .value_kind:     by_value
      - .offset:         184
        .size:           4
        .value_kind:     hidden_block_count_x
      - .offset:         188
        .size:           4
        .value_kind:     hidden_block_count_y
      - .offset:         192
        .size:           4
        .value_kind:     hidden_block_count_z
      - .offset:         196
        .size:           2
        .value_kind:     hidden_group_size_x
      - .offset:         198
        .size:           2
        .value_kind:     hidden_group_size_y
      - .offset:         200
        .size:           2
        .value_kind:     hidden_group_size_z
      - .offset:         202
        .size:           2
        .value_kind:     hidden_remainder_x
      - .offset:         204
        .size:           2
        .value_kind:     hidden_remainder_y
      - .offset:         206
        .size:           2
        .value_kind:     hidden_remainder_z
      - .offset:         224
        .size:           8
        .value_kind:     hidden_global_offset_x
      - .offset:         232
        .size:           8
        .value_kind:     hidden_global_offset_y
      - .offset:         240
        .size:           8
        .value_kind:     hidden_global_offset_z
      - .offset:         248
        .size:           2
        .value_kind:     hidden_grid_dims
    .group_segment_fixed_size: 0
    .kernarg_segment_align: 8
    .kernarg_segment_size: 440
    .language:       OpenCL C
    .language_version:
      - 2
      - 0
    .max_flat_workgroup_size: 1024
    .name:           _ZN2at6native12_GLOBAL__N_143conv_depthwise3d_cuda_backward_input_kernelIddLi3ELi3ELi3ELi1ELi1ELi1ELin1ELin1ELin1EEEvN5torch10headeronly6detail27GenericPackedTensorAccessorINS5_14TensorAccessorIN3c108ArrayRefIlEEKT_Lm4ENS4_16DefaultPtrTraitsEiEENS_6detail16IndexBoundsCheckILm5EiEESC_Lm5ESD_iEENS6_INS7_ISA_SB_Lm4ESD_iEESH_SB_Lm5ESD_iEESI_iiiiiiiii
    .private_segment_fixed_size: 252
    .sgpr_count:     104
    .sgpr_spill_count: 71
    .symbol:         _ZN2at6native12_GLOBAL__N_143conv_depthwise3d_cuda_backward_input_kernelIddLi3ELi3ELi3ELi1ELi1ELi1ELin1ELin1ELin1EEEvN5torch10headeronly6detail27GenericPackedTensorAccessorINS5_14TensorAccessorIN3c108ArrayRefIlEEKT_Lm4ENS4_16DefaultPtrTraitsEiEENS_6detail16IndexBoundsCheckILm5EiEESC_Lm5ESD_iEENS6_INS7_ISA_SB_Lm4ESD_iEESH_SB_Lm5ESD_iEESI_iiiiiiiii.kd
    .uniform_work_group_size: 1
    .uses_dynamic_stack: false
    .vgpr_count:     128
    .vgpr_spill_count: 62
    .wavefront_size: 64
  - .agpr_count:     0
    .args:
      - .offset:         0
        .size:           48
        .value_kind:     by_value
      - .offset:         48
        .size:           48
        .value_kind:     by_value
      - .offset:         96
        .size:           48
        .value_kind:     by_value
      - .offset:         144
        .size:           4
        .value_kind:     by_value
      - .offset:         148
        .size:           4
        .value_kind:     by_value
      - .offset:         152
        .size:           4
        .value_kind:     by_value
      - .offset:         156
        .size:           4
        .value_kind:     by_value
      - .offset:         160
        .size:           4
        .value_kind:     by_value
      - .offset:         164
        .size:           4
        .value_kind:     by_value
      - .offset:         168
        .size:           4
        .value_kind:     by_value
      - .offset:         172
        .size:           4
        .value_kind:     by_value
      - .offset:         176
        .size:           4
        .value_kind:     by_value
      - .offset:         184
        .size:           4
        .value_kind:     hidden_block_count_x
      - .offset:         188
        .size:           4
        .value_kind:     hidden_block_count_y
      - .offset:         192
        .size:           4
        .value_kind:     hidden_block_count_z
      - .offset:         196
        .size:           2
        .value_kind:     hidden_group_size_x
      - .offset:         198
        .size:           2
        .value_kind:     hidden_group_size_y
      - .offset:         200
        .size:           2
        .value_kind:     hidden_group_size_z
      - .offset:         202
        .size:           2
        .value_kind:     hidden_remainder_x
      - .offset:         204
        .size:           2
        .value_kind:     hidden_remainder_y
      - .offset:         206
        .size:           2
        .value_kind:     hidden_remainder_z
      - .offset:         224
        .size:           8
        .value_kind:     hidden_global_offset_x
      - .offset:         232
        .size:           8
        .value_kind:     hidden_global_offset_y
      - .offset:         240
        .size:           8
        .value_kind:     hidden_global_offset_z
      - .offset:         248
        .size:           2
        .value_kind:     hidden_grid_dims
    .group_segment_fixed_size: 0
    .kernarg_segment_align: 8
    .kernarg_segment_size: 440
    .language:       OpenCL C
    .language_version:
      - 2
      - 0
    .max_flat_workgroup_size: 1024
    .name:           _ZN2at6native12_GLOBAL__N_143conv_depthwise3d_cuda_backward_input_kernelIddLi3ELi3ELi3ELin1ELin1ELin1ELi1ELi1ELi1EEEvN5torch10headeronly6detail27GenericPackedTensorAccessorINS5_14TensorAccessorIN3c108ArrayRefIlEEKT_Lm4ENS4_16DefaultPtrTraitsEiEENS_6detail16IndexBoundsCheckILm5EiEESC_Lm5ESD_iEENS6_INS7_ISA_SB_Lm4ESD_iEESH_SB_Lm5ESD_iEESI_iiiiiiiii
    .private_segment_fixed_size: 232
    .sgpr_count:     104
    .sgpr_spill_count: 15
    .symbol:         _ZN2at6native12_GLOBAL__N_143conv_depthwise3d_cuda_backward_input_kernelIddLi3ELi3ELi3ELin1ELin1ELin1ELi1ELi1ELi1EEEvN5torch10headeronly6detail27GenericPackedTensorAccessorINS5_14TensorAccessorIN3c108ArrayRefIlEEKT_Lm4ENS4_16DefaultPtrTraitsEiEENS_6detail16IndexBoundsCheckILm5EiEESC_Lm5ESD_iEENS6_INS7_ISA_SB_Lm4ESD_iEESH_SB_Lm5ESD_iEESI_iiiiiiiii.kd
    .uniform_work_group_size: 1
    .uses_dynamic_stack: false
    .vgpr_count:     128
    .vgpr_spill_count: 57
    .wavefront_size: 64
  - .agpr_count:     0
    .args:
      - .offset:         0
        .size:           48
        .value_kind:     by_value
      - .offset:         48
        .size:           48
        .value_kind:     by_value
      - .offset:         96
        .size:           48
        .value_kind:     by_value
      - .offset:         144
        .size:           4
        .value_kind:     by_value
      - .offset:         148
        .size:           4
        .value_kind:     by_value
      - .offset:         152
        .size:           4
        .value_kind:     by_value
      - .offset:         156
        .size:           4
        .value_kind:     by_value
      - .offset:         160
        .size:           4
        .value_kind:     by_value
      - .offset:         164
        .size:           4
        .value_kind:     by_value
      - .offset:         168
        .size:           4
        .value_kind:     by_value
      - .offset:         172
        .size:           4
        .value_kind:     by_value
      - .offset:         176
        .size:           4
        .value_kind:     by_value
      - .offset:         184
        .size:           4
        .value_kind:     hidden_block_count_x
      - .offset:         188
        .size:           4
        .value_kind:     hidden_block_count_y
      - .offset:         192
        .size:           4
        .value_kind:     hidden_block_count_z
      - .offset:         196
        .size:           2
        .value_kind:     hidden_group_size_x
      - .offset:         198
        .size:           2
        .value_kind:     hidden_group_size_y
      - .offset:         200
        .size:           2
        .value_kind:     hidden_group_size_z
      - .offset:         202
        .size:           2
        .value_kind:     hidden_remainder_x
      - .offset:         204
        .size:           2
        .value_kind:     hidden_remainder_y
      - .offset:         206
        .size:           2
        .value_kind:     hidden_remainder_z
      - .offset:         224
        .size:           8
        .value_kind:     hidden_global_offset_x
      - .offset:         232
        .size:           8
        .value_kind:     hidden_global_offset_y
      - .offset:         240
        .size:           8
        .value_kind:     hidden_global_offset_z
      - .offset:         248
        .size:           2
        .value_kind:     hidden_grid_dims
    .group_segment_fixed_size: 0
    .kernarg_segment_align: 8
    .kernarg_segment_size: 440
    .language:       OpenCL C
    .language_version:
      - 2
      - 0
    .max_flat_workgroup_size: 1024
    .name:           _ZN2at6native12_GLOBAL__N_143conv_depthwise3d_cuda_backward_input_kernelIddLi3ELi3ELi3ELin1ELin1ELin1ELin1ELin1ELin1EEEvN5torch10headeronly6detail27GenericPackedTensorAccessorINS5_14TensorAccessorIN3c108ArrayRefIlEEKT_Lm4ENS4_16DefaultPtrTraitsEiEENS_6detail16IndexBoundsCheckILm5EiEESC_Lm5ESD_iEENS6_INS7_ISA_SB_Lm4ESD_iEESH_SB_Lm5ESD_iEESI_iiiiiiiii
    .private_segment_fixed_size: 252
    .sgpr_count:     104
    .sgpr_spill_count: 77
    .symbol:         _ZN2at6native12_GLOBAL__N_143conv_depthwise3d_cuda_backward_input_kernelIddLi3ELi3ELi3ELin1ELin1ELin1ELin1ELin1ELin1EEEvN5torch10headeronly6detail27GenericPackedTensorAccessorINS5_14TensorAccessorIN3c108ArrayRefIlEEKT_Lm4ENS4_16DefaultPtrTraitsEiEENS_6detail16IndexBoundsCheckILm5EiEESC_Lm5ESD_iEENS6_INS7_ISA_SB_Lm4ESD_iEESH_SB_Lm5ESD_iEESI_iiiiiiiii.kd
    .uniform_work_group_size: 1
    .uses_dynamic_stack: false
    .vgpr_count:     128
    .vgpr_spill_count: 62
    .wavefront_size: 64
  - .agpr_count:     0
    .args:
      - .offset:         0
        .size:           48
        .value_kind:     by_value
      - .offset:         48
        .size:           48
        .value_kind:     by_value
      - .offset:         96
        .size:           48
        .value_kind:     by_value
      - .offset:         144
        .size:           4
        .value_kind:     by_value
      - .offset:         148
        .size:           4
        .value_kind:     by_value
      - .offset:         152
        .size:           4
        .value_kind:     by_value
      - .offset:         156
        .size:           4
        .value_kind:     by_value
      - .offset:         160
        .size:           4
        .value_kind:     by_value
      - .offset:         164
        .size:           4
        .value_kind:     by_value
      - .offset:         168
        .size:           4
        .value_kind:     by_value
      - .offset:         172
        .size:           4
        .value_kind:     by_value
      - .offset:         176
        .size:           4
        .value_kind:     by_value
      - .offset:         184
        .size:           4
        .value_kind:     hidden_block_count_x
      - .offset:         188
        .size:           4
        .value_kind:     hidden_block_count_y
      - .offset:         192
        .size:           4
        .value_kind:     hidden_block_count_z
      - .offset:         196
        .size:           2
        .value_kind:     hidden_group_size_x
      - .offset:         198
        .size:           2
        .value_kind:     hidden_group_size_y
      - .offset:         200
        .size:           2
        .value_kind:     hidden_group_size_z
      - .offset:         202
        .size:           2
        .value_kind:     hidden_remainder_x
      - .offset:         204
        .size:           2
        .value_kind:     hidden_remainder_y
      - .offset:         206
        .size:           2
        .value_kind:     hidden_remainder_z
      - .offset:         224
        .size:           8
        .value_kind:     hidden_global_offset_x
      - .offset:         232
        .size:           8
        .value_kind:     hidden_global_offset_y
      - .offset:         240
        .size:           8
        .value_kind:     hidden_global_offset_z
      - .offset:         248
        .size:           2
        .value_kind:     hidden_grid_dims
    .group_segment_fixed_size: 0
    .kernarg_segment_align: 8
    .kernarg_segment_size: 440
    .language:       OpenCL C
    .language_version:
      - 2
      - 0
    .max_flat_workgroup_size: 1024
    .name:           _ZN2at6native12_GLOBAL__N_143conv_depthwise3d_cuda_backward_input_kernelIddLin1ELin1ELin1ELin1ELin1ELin1ELin1ELin1ELin1EEEvN5torch10headeronly6detail27GenericPackedTensorAccessorINS5_14TensorAccessorIN3c108ArrayRefIlEEKT_Lm4ENS4_16DefaultPtrTraitsEiEENS_6detail16IndexBoundsCheckILm5EiEESC_Lm5ESD_iEENS6_INS7_ISA_SB_Lm4ESD_iEESH_SB_Lm5ESD_iEESI_iiiiiiiii
    .private_segment_fixed_size: 0
    .sgpr_count:     86
    .sgpr_spill_count: 0
    .symbol:         _ZN2at6native12_GLOBAL__N_143conv_depthwise3d_cuda_backward_input_kernelIddLin1ELin1ELin1ELin1ELin1ELin1ELin1ELin1ELin1EEEvN5torch10headeronly6detail27GenericPackedTensorAccessorINS5_14TensorAccessorIN3c108ArrayRefIlEEKT_Lm4ENS4_16DefaultPtrTraitsEiEENS_6detail16IndexBoundsCheckILm5EiEESC_Lm5ESD_iEENS6_INS7_ISA_SB_Lm4ESD_iEESH_SB_Lm5ESD_iEESI_iiiiiiiii.kd
    .uniform_work_group_size: 1
    .uses_dynamic_stack: false
    .vgpr_count:     36
    .vgpr_spill_count: 0
    .wavefront_size: 64
  - .agpr_count:     0
    .args:
      - .offset:         0
        .size:           48
        .value_kind:     by_value
      - .offset:         48
        .size:           48
        .value_kind:     by_value
      - .offset:         96
        .size:           48
        .value_kind:     by_value
      - .offset:         144
        .size:           4
        .value_kind:     by_value
      - .offset:         148
        .size:           4
        .value_kind:     by_value
      - .offset:         152
        .size:           4
        .value_kind:     by_value
      - .offset:         156
        .size:           4
        .value_kind:     by_value
      - .offset:         160
        .size:           4
        .value_kind:     by_value
      - .offset:         164
        .size:           4
        .value_kind:     by_value
      - .offset:         168
        .size:           4
        .value_kind:     by_value
      - .offset:         172
        .size:           4
        .value_kind:     by_value
      - .offset:         176
        .size:           4
        .value_kind:     by_value
      - .offset:         184
        .size:           4
        .value_kind:     hidden_block_count_x
      - .offset:         188
        .size:           4
        .value_kind:     hidden_block_count_y
      - .offset:         192
        .size:           4
        .value_kind:     hidden_block_count_z
      - .offset:         196
        .size:           2
        .value_kind:     hidden_group_size_x
      - .offset:         198
        .size:           2
        .value_kind:     hidden_group_size_y
      - .offset:         200
        .size:           2
        .value_kind:     hidden_group_size_z
      - .offset:         202
        .size:           2
        .value_kind:     hidden_remainder_x
      - .offset:         204
        .size:           2
        .value_kind:     hidden_remainder_y
      - .offset:         206
        .size:           2
        .value_kind:     hidden_remainder_z
      - .offset:         224
        .size:           8
        .value_kind:     hidden_global_offset_x
      - .offset:         232
        .size:           8
        .value_kind:     hidden_global_offset_y
      - .offset:         240
        .size:           8
        .value_kind:     hidden_global_offset_z
      - .offset:         248
        .size:           2
        .value_kind:     hidden_grid_dims
    .group_segment_fixed_size: 0
    .kernarg_segment_align: 8
    .kernarg_segment_size: 440
    .language:       OpenCL C
    .language_version:
      - 2
      - 0
    .max_flat_workgroup_size: 1024
    .name:           _ZN2at6native12_GLOBAL__N_143conv_depthwise3d_cuda_backward_input_kernelIffLi3ELi3ELi3ELi1ELi1ELi1ELi1ELi1ELi1EEEvN5torch10headeronly6detail27GenericPackedTensorAccessorINS5_14TensorAccessorIN3c108ArrayRefIlEEKT_Lm4ENS4_16DefaultPtrTraitsEiEENS_6detail16IndexBoundsCheckILm5EiEESC_Lm5ESD_iEENS6_INS7_ISA_SB_Lm4ESD_iEESH_SB_Lm5ESD_iEESI_iiiiiiiii
    .private_segment_fixed_size: 12
    .sgpr_count:     104
    .sgpr_spill_count: 9
    .symbol:         _ZN2at6native12_GLOBAL__N_143conv_depthwise3d_cuda_backward_input_kernelIffLi3ELi3ELi3ELi1ELi1ELi1ELi1ELi1ELi1EEEvN5torch10headeronly6detail27GenericPackedTensorAccessorINS5_14TensorAccessorIN3c108ArrayRefIlEEKT_Lm4ENS4_16DefaultPtrTraitsEiEENS_6detail16IndexBoundsCheckILm5EiEESC_Lm5ESD_iEENS6_INS7_ISA_SB_Lm4ESD_iEESH_SB_Lm5ESD_iEESI_iiiiiiiii.kd
    .uniform_work_group_size: 1
    .uses_dynamic_stack: false
    .vgpr_count:     128
    .vgpr_spill_count: 2
    .wavefront_size: 64
  - .agpr_count:     0
    .args:
      - .offset:         0
        .size:           48
        .value_kind:     by_value
      - .offset:         48
        .size:           48
        .value_kind:     by_value
      - .offset:         96
        .size:           48
        .value_kind:     by_value
      - .offset:         144
        .size:           4
        .value_kind:     by_value
      - .offset:         148
        .size:           4
        .value_kind:     by_value
      - .offset:         152
        .size:           4
        .value_kind:     by_value
      - .offset:         156
        .size:           4
        .value_kind:     by_value
      - .offset:         160
        .size:           4
        .value_kind:     by_value
      - .offset:         164
        .size:           4
        .value_kind:     by_value
      - .offset:         168
        .size:           4
        .value_kind:     by_value
      - .offset:         172
        .size:           4
        .value_kind:     by_value
      - .offset:         176
        .size:           4
        .value_kind:     by_value
      - .offset:         184
        .size:           4
        .value_kind:     hidden_block_count_x
      - .offset:         188
        .size:           4
        .value_kind:     hidden_block_count_y
      - .offset:         192
        .size:           4
        .value_kind:     hidden_block_count_z
      - .offset:         196
        .size:           2
        .value_kind:     hidden_group_size_x
      - .offset:         198
        .size:           2
        .value_kind:     hidden_group_size_y
      - .offset:         200
        .size:           2
        .value_kind:     hidden_group_size_z
      - .offset:         202
        .size:           2
        .value_kind:     hidden_remainder_x
      - .offset:         204
        .size:           2
        .value_kind:     hidden_remainder_y
      - .offset:         206
        .size:           2
        .value_kind:     hidden_remainder_z
      - .offset:         224
        .size:           8
        .value_kind:     hidden_global_offset_x
      - .offset:         232
        .size:           8
        .value_kind:     hidden_global_offset_y
      - .offset:         240
        .size:           8
        .value_kind:     hidden_global_offset_z
      - .offset:         248
        .size:           2
        .value_kind:     hidden_grid_dims
    .group_segment_fixed_size: 0
    .kernarg_segment_align: 8
    .kernarg_segment_size: 440
    .language:       OpenCL C
    .language_version:
      - 2
      - 0
    .max_flat_workgroup_size: 1024
    .name:           _ZN2at6native12_GLOBAL__N_143conv_depthwise3d_cuda_backward_input_kernelIffLi3ELi3ELi3ELi1ELi1ELi1ELin1ELin1ELin1EEEvN5torch10headeronly6detail27GenericPackedTensorAccessorINS5_14TensorAccessorIN3c108ArrayRefIlEEKT_Lm4ENS4_16DefaultPtrTraitsEiEENS_6detail16IndexBoundsCheckILm5EiEESC_Lm5ESD_iEENS6_INS7_ISA_SB_Lm4ESD_iEESH_SB_Lm5ESD_iEESI_iiiiiiiii
    .private_segment_fixed_size: 20
    .sgpr_count:     104
    .sgpr_spill_count: 70
    .symbol:         _ZN2at6native12_GLOBAL__N_143conv_depthwise3d_cuda_backward_input_kernelIffLi3ELi3ELi3ELi1ELi1ELi1ELin1ELin1ELin1EEEvN5torch10headeronly6detail27GenericPackedTensorAccessorINS5_14TensorAccessorIN3c108ArrayRefIlEEKT_Lm4ENS4_16DefaultPtrTraitsEiEENS_6detail16IndexBoundsCheckILm5EiEESC_Lm5ESD_iEENS6_INS7_ISA_SB_Lm4ESD_iEESH_SB_Lm5ESD_iEESI_iiiiiiiii.kd
    .uniform_work_group_size: 1
    .uses_dynamic_stack: false
    .vgpr_count:     128
    .vgpr_spill_count: 4
    .wavefront_size: 64
  - .agpr_count:     0
    .args:
      - .offset:         0
        .size:           48
        .value_kind:     by_value
      - .offset:         48
        .size:           48
        .value_kind:     by_value
      - .offset:         96
        .size:           48
        .value_kind:     by_value
      - .offset:         144
        .size:           4
        .value_kind:     by_value
      - .offset:         148
        .size:           4
        .value_kind:     by_value
      - .offset:         152
        .size:           4
        .value_kind:     by_value
      - .offset:         156
        .size:           4
        .value_kind:     by_value
      - .offset:         160
        .size:           4
        .value_kind:     by_value
      - .offset:         164
        .size:           4
        .value_kind:     by_value
      - .offset:         168
        .size:           4
        .value_kind:     by_value
      - .offset:         172
        .size:           4
        .value_kind:     by_value
      - .offset:         176
        .size:           4
        .value_kind:     by_value
      - .offset:         184
        .size:           4
        .value_kind:     hidden_block_count_x
      - .offset:         188
        .size:           4
        .value_kind:     hidden_block_count_y
      - .offset:         192
        .size:           4
        .value_kind:     hidden_block_count_z
      - .offset:         196
        .size:           2
        .value_kind:     hidden_group_size_x
      - .offset:         198
        .size:           2
        .value_kind:     hidden_group_size_y
      - .offset:         200
        .size:           2
        .value_kind:     hidden_group_size_z
      - .offset:         202
        .size:           2
        .value_kind:     hidden_remainder_x
      - .offset:         204
        .size:           2
        .value_kind:     hidden_remainder_y
      - .offset:         206
        .size:           2
        .value_kind:     hidden_remainder_z
      - .offset:         224
        .size:           8
        .value_kind:     hidden_global_offset_x
      - .offset:         232
        .size:           8
        .value_kind:     hidden_global_offset_y
      - .offset:         240
        .size:           8
        .value_kind:     hidden_global_offset_z
      - .offset:         248
        .size:           2
        .value_kind:     hidden_grid_dims
    .group_segment_fixed_size: 0
    .kernarg_segment_align: 8
    .kernarg_segment_size: 440
    .language:       OpenCL C
    .language_version:
      - 2
      - 0
    .max_flat_workgroup_size: 1024
    .name:           _ZN2at6native12_GLOBAL__N_143conv_depthwise3d_cuda_backward_input_kernelIffLi3ELi3ELi3ELin1ELin1ELin1ELi1ELi1ELi1EEEvN5torch10headeronly6detail27GenericPackedTensorAccessorINS5_14TensorAccessorIN3c108ArrayRefIlEEKT_Lm4ENS4_16DefaultPtrTraitsEiEENS_6detail16IndexBoundsCheckILm5EiEESC_Lm5ESD_iEENS6_INS7_ISA_SB_Lm4ESD_iEESH_SB_Lm5ESD_iEESI_iiiiiiiii
    .private_segment_fixed_size: 12
    .sgpr_count:     104
    .sgpr_spill_count: 15
    .symbol:         _ZN2at6native12_GLOBAL__N_143conv_depthwise3d_cuda_backward_input_kernelIffLi3ELi3ELi3ELin1ELin1ELin1ELi1ELi1ELi1EEEvN5torch10headeronly6detail27GenericPackedTensorAccessorINS5_14TensorAccessorIN3c108ArrayRefIlEEKT_Lm4ENS4_16DefaultPtrTraitsEiEENS_6detail16IndexBoundsCheckILm5EiEESC_Lm5ESD_iEENS6_INS7_ISA_SB_Lm4ESD_iEESH_SB_Lm5ESD_iEESI_iiiiiiiii.kd
    .uniform_work_group_size: 1
    .uses_dynamic_stack: false
    .vgpr_count:     128
    .vgpr_spill_count: 2
    .wavefront_size: 64
  - .agpr_count:     0
    .args:
      - .offset:         0
        .size:           48
        .value_kind:     by_value
      - .offset:         48
        .size:           48
        .value_kind:     by_value
      - .offset:         96
        .size:           48
        .value_kind:     by_value
      - .offset:         144
        .size:           4
        .value_kind:     by_value
      - .offset:         148
        .size:           4
        .value_kind:     by_value
      - .offset:         152
        .size:           4
        .value_kind:     by_value
      - .offset:         156
        .size:           4
        .value_kind:     by_value
      - .offset:         160
        .size:           4
        .value_kind:     by_value
      - .offset:         164
        .size:           4
        .value_kind:     by_value
      - .offset:         168
        .size:           4
        .value_kind:     by_value
      - .offset:         172
        .size:           4
        .value_kind:     by_value
      - .offset:         176
        .size:           4
        .value_kind:     by_value
      - .offset:         184
        .size:           4
        .value_kind:     hidden_block_count_x
      - .offset:         188
        .size:           4
        .value_kind:     hidden_block_count_y
      - .offset:         192
        .size:           4
        .value_kind:     hidden_block_count_z
      - .offset:         196
        .size:           2
        .value_kind:     hidden_group_size_x
      - .offset:         198
        .size:           2
        .value_kind:     hidden_group_size_y
      - .offset:         200
        .size:           2
        .value_kind:     hidden_group_size_z
      - .offset:         202
        .size:           2
        .value_kind:     hidden_remainder_x
      - .offset:         204
        .size:           2
        .value_kind:     hidden_remainder_y
      - .offset:         206
        .size:           2
        .value_kind:     hidden_remainder_z
      - .offset:         224
        .size:           8
        .value_kind:     hidden_global_offset_x
      - .offset:         232
        .size:           8
        .value_kind:     hidden_global_offset_y
      - .offset:         240
        .size:           8
        .value_kind:     hidden_global_offset_z
      - .offset:         248
        .size:           2
        .value_kind:     hidden_grid_dims
    .group_segment_fixed_size: 0
    .kernarg_segment_align: 8
    .kernarg_segment_size: 440
    .language:       OpenCL C
    .language_version:
      - 2
      - 0
    .max_flat_workgroup_size: 1024
    .name:           _ZN2at6native12_GLOBAL__N_143conv_depthwise3d_cuda_backward_input_kernelIffLi3ELi3ELi3ELin1ELin1ELin1ELin1ELin1ELin1EEEvN5torch10headeronly6detail27GenericPackedTensorAccessorINS5_14TensorAccessorIN3c108ArrayRefIlEEKT_Lm4ENS4_16DefaultPtrTraitsEiEENS_6detail16IndexBoundsCheckILm5EiEESC_Lm5ESD_iEENS6_INS7_ISA_SB_Lm4ESD_iEESH_SB_Lm5ESD_iEESI_iiiiiiiii
    .private_segment_fixed_size: 20
    .sgpr_count:     104
    .sgpr_spill_count: 76
    .symbol:         _ZN2at6native12_GLOBAL__N_143conv_depthwise3d_cuda_backward_input_kernelIffLi3ELi3ELi3ELin1ELin1ELin1ELin1ELin1ELin1EEEvN5torch10headeronly6detail27GenericPackedTensorAccessorINS5_14TensorAccessorIN3c108ArrayRefIlEEKT_Lm4ENS4_16DefaultPtrTraitsEiEENS_6detail16IndexBoundsCheckILm5EiEESC_Lm5ESD_iEENS6_INS7_ISA_SB_Lm4ESD_iEESH_SB_Lm5ESD_iEESI_iiiiiiiii.kd
    .uniform_work_group_size: 1
    .uses_dynamic_stack: false
    .vgpr_count:     128
    .vgpr_spill_count: 4
    .wavefront_size: 64
  - .agpr_count:     0
    .args:
      - .offset:         0
        .size:           48
        .value_kind:     by_value
      - .offset:         48
        .size:           48
        .value_kind:     by_value
      - .offset:         96
        .size:           48
        .value_kind:     by_value
      - .offset:         144
        .size:           4
        .value_kind:     by_value
      - .offset:         148
        .size:           4
        .value_kind:     by_value
      - .offset:         152
        .size:           4
        .value_kind:     by_value
      - .offset:         156
        .size:           4
        .value_kind:     by_value
      - .offset:         160
        .size:           4
        .value_kind:     by_value
      - .offset:         164
        .size:           4
        .value_kind:     by_value
      - .offset:         168
        .size:           4
        .value_kind:     by_value
      - .offset:         172
        .size:           4
        .value_kind:     by_value
      - .offset:         176
        .size:           4
        .value_kind:     by_value
      - .offset:         184
        .size:           4
        .value_kind:     hidden_block_count_x
      - .offset:         188
        .size:           4
        .value_kind:     hidden_block_count_y
      - .offset:         192
        .size:           4
        .value_kind:     hidden_block_count_z
      - .offset:         196
        .size:           2
        .value_kind:     hidden_group_size_x
      - .offset:         198
        .size:           2
        .value_kind:     hidden_group_size_y
      - .offset:         200
        .size:           2
        .value_kind:     hidden_group_size_z
      - .offset:         202
        .size:           2
        .value_kind:     hidden_remainder_x
      - .offset:         204
        .size:           2
        .value_kind:     hidden_remainder_y
      - .offset:         206
        .size:           2
        .value_kind:     hidden_remainder_z
      - .offset:         224
        .size:           8
        .value_kind:     hidden_global_offset_x
      - .offset:         232
        .size:           8
        .value_kind:     hidden_global_offset_y
      - .offset:         240
        .size:           8
        .value_kind:     hidden_global_offset_z
      - .offset:         248
        .size:           2
        .value_kind:     hidden_grid_dims
    .group_segment_fixed_size: 0
    .kernarg_segment_align: 8
    .kernarg_segment_size: 440
    .language:       OpenCL C
    .language_version:
      - 2
      - 0
    .max_flat_workgroup_size: 1024
    .name:           _ZN2at6native12_GLOBAL__N_143conv_depthwise3d_cuda_backward_input_kernelIffLin1ELin1ELin1ELin1ELin1ELin1ELin1ELin1ELin1EEEvN5torch10headeronly6detail27GenericPackedTensorAccessorINS5_14TensorAccessorIN3c108ArrayRefIlEEKT_Lm4ENS4_16DefaultPtrTraitsEiEENS_6detail16IndexBoundsCheckILm5EiEESC_Lm5ESD_iEENS6_INS7_ISA_SB_Lm4ESD_iEESH_SB_Lm5ESD_iEESI_iiiiiiiii
    .private_segment_fixed_size: 0
    .sgpr_count:     86
    .sgpr_spill_count: 0
    .symbol:         _ZN2at6native12_GLOBAL__N_143conv_depthwise3d_cuda_backward_input_kernelIffLin1ELin1ELin1ELin1ELin1ELin1ELin1ELin1ELin1EEEvN5torch10headeronly6detail27GenericPackedTensorAccessorINS5_14TensorAccessorIN3c108ArrayRefIlEEKT_Lm4ENS4_16DefaultPtrTraitsEiEENS_6detail16IndexBoundsCheckILm5EiEESC_Lm5ESD_iEENS6_INS7_ISA_SB_Lm4ESD_iEESH_SB_Lm5ESD_iEESI_iiiiiiiii.kd
    .uniform_work_group_size: 1
    .uses_dynamic_stack: false
    .vgpr_count:     34
    .vgpr_spill_count: 0
    .wavefront_size: 64
  - .agpr_count:     0
    .args:
      - .offset:         0
        .size:           48
        .value_kind:     by_value
      - .offset:         48
        .size:           48
        .value_kind:     by_value
      - .offset:         96
        .size:           48
        .value_kind:     by_value
      - .offset:         144
        .size:           4
        .value_kind:     by_value
      - .offset:         148
        .size:           4
        .value_kind:     by_value
      - .offset:         152
        .size:           4
        .value_kind:     by_value
      - .offset:         156
        .size:           4
        .value_kind:     by_value
      - .offset:         160
        .size:           4
        .value_kind:     by_value
      - .offset:         164
        .size:           4
        .value_kind:     by_value
      - .offset:         168
        .size:           4
        .value_kind:     by_value
      - .offset:         172
        .size:           4
        .value_kind:     by_value
      - .offset:         176
        .size:           4
        .value_kind:     by_value
      - .offset:         184
        .size:           4
        .value_kind:     hidden_block_count_x
      - .offset:         188
        .size:           4
        .value_kind:     hidden_block_count_y
      - .offset:         192
        .size:           4
        .value_kind:     hidden_block_count_z
      - .offset:         196
        .size:           2
        .value_kind:     hidden_group_size_x
      - .offset:         198
        .size:           2
        .value_kind:     hidden_group_size_y
      - .offset:         200
        .size:           2
        .value_kind:     hidden_group_size_z
      - .offset:         202
        .size:           2
        .value_kind:     hidden_remainder_x
      - .offset:         204
        .size:           2
        .value_kind:     hidden_remainder_y
      - .offset:         206
        .size:           2
        .value_kind:     hidden_remainder_z
      - .offset:         224
        .size:           8
        .value_kind:     hidden_global_offset_x
      - .offset:         232
        .size:           8
        .value_kind:     hidden_global_offset_y
      - .offset:         240
        .size:           8
        .value_kind:     hidden_global_offset_z
      - .offset:         248
        .size:           2
        .value_kind:     hidden_grid_dims
    .group_segment_fixed_size: 0
    .kernarg_segment_align: 8
    .kernarg_segment_size: 440
    .language:       OpenCL C
    .language_version:
      - 2
      - 0
    .max_flat_workgroup_size: 1024
    .name:           _ZN2at6native12_GLOBAL__N_143conv_depthwise3d_cuda_backward_input_kernelIN3c104HalfEfLi3ELi3ELi3ELi1ELi1ELi1ELi1ELi1ELi1EEEvN5torch10headeronly6detail27GenericPackedTensorAccessorINS7_14TensorAccessorINS3_8ArrayRefIlEEKT_Lm4ENS6_16DefaultPtrTraitsEiEENS_6detail16IndexBoundsCheckILm5EiEESD_Lm5ESE_iEENS8_INS9_ISB_SC_Lm4ESE_iEESI_SC_Lm5ESE_iEESJ_iiiiiiiii
    .private_segment_fixed_size: 12
    .sgpr_count:     104
    .sgpr_spill_count: 9
    .symbol:         _ZN2at6native12_GLOBAL__N_143conv_depthwise3d_cuda_backward_input_kernelIN3c104HalfEfLi3ELi3ELi3ELi1ELi1ELi1ELi1ELi1ELi1EEEvN5torch10headeronly6detail27GenericPackedTensorAccessorINS7_14TensorAccessorINS3_8ArrayRefIlEEKT_Lm4ENS6_16DefaultPtrTraitsEiEENS_6detail16IndexBoundsCheckILm5EiEESD_Lm5ESE_iEENS8_INS9_ISB_SC_Lm4ESE_iEESI_SC_Lm5ESE_iEESJ_iiiiiiiii.kd
    .uniform_work_group_size: 1
    .uses_dynamic_stack: false
    .vgpr_count:     128
    .vgpr_spill_count: 2
    .wavefront_size: 64
  - .agpr_count:     0
    .args:
      - .offset:         0
        .size:           48
        .value_kind:     by_value
      - .offset:         48
        .size:           48
        .value_kind:     by_value
      - .offset:         96
        .size:           48
        .value_kind:     by_value
      - .offset:         144
        .size:           4
        .value_kind:     by_value
      - .offset:         148
        .size:           4
        .value_kind:     by_value
      - .offset:         152
        .size:           4
        .value_kind:     by_value
      - .offset:         156
        .size:           4
        .value_kind:     by_value
      - .offset:         160
        .size:           4
        .value_kind:     by_value
      - .offset:         164
        .size:           4
        .value_kind:     by_value
      - .offset:         168
        .size:           4
        .value_kind:     by_value
      - .offset:         172
        .size:           4
        .value_kind:     by_value
      - .offset:         176
        .size:           4
        .value_kind:     by_value
      - .offset:         184
        .size:           4
        .value_kind:     hidden_block_count_x
      - .offset:         188
        .size:           4
        .value_kind:     hidden_block_count_y
      - .offset:         192
        .size:           4
        .value_kind:     hidden_block_count_z
      - .offset:         196
        .size:           2
        .value_kind:     hidden_group_size_x
      - .offset:         198
        .size:           2
        .value_kind:     hidden_group_size_y
      - .offset:         200
        .size:           2
        .value_kind:     hidden_group_size_z
      - .offset:         202
        .size:           2
        .value_kind:     hidden_remainder_x
      - .offset:         204
        .size:           2
        .value_kind:     hidden_remainder_y
      - .offset:         206
        .size:           2
        .value_kind:     hidden_remainder_z
      - .offset:         224
        .size:           8
        .value_kind:     hidden_global_offset_x
      - .offset:         232
        .size:           8
        .value_kind:     hidden_global_offset_y
      - .offset:         240
        .size:           8
        .value_kind:     hidden_global_offset_z
      - .offset:         248
        .size:           2
        .value_kind:     hidden_grid_dims
    .group_segment_fixed_size: 0
    .kernarg_segment_align: 8
    .kernarg_segment_size: 440
    .language:       OpenCL C
    .language_version:
      - 2
      - 0
    .max_flat_workgroup_size: 1024
    .name:           _ZN2at6native12_GLOBAL__N_143conv_depthwise3d_cuda_backward_input_kernelIN3c104HalfEfLi3ELi3ELi3ELi1ELi1ELi1ELin1ELin1ELin1EEEvN5torch10headeronly6detail27GenericPackedTensorAccessorINS7_14TensorAccessorINS3_8ArrayRefIlEEKT_Lm4ENS6_16DefaultPtrTraitsEiEENS_6detail16IndexBoundsCheckILm5EiEESD_Lm5ESE_iEENS8_INS9_ISB_SC_Lm4ESE_iEESI_SC_Lm5ESE_iEESJ_iiiiiiiii
    .private_segment_fixed_size: 20
    .sgpr_count:     104
    .sgpr_spill_count: 69
    .symbol:         _ZN2at6native12_GLOBAL__N_143conv_depthwise3d_cuda_backward_input_kernelIN3c104HalfEfLi3ELi3ELi3ELi1ELi1ELi1ELin1ELin1ELin1EEEvN5torch10headeronly6detail27GenericPackedTensorAccessorINS7_14TensorAccessorINS3_8ArrayRefIlEEKT_Lm4ENS6_16DefaultPtrTraitsEiEENS_6detail16IndexBoundsCheckILm5EiEESD_Lm5ESE_iEENS8_INS9_ISB_SC_Lm4ESE_iEESI_SC_Lm5ESE_iEESJ_iiiiiiiii.kd
    .uniform_work_group_size: 1
    .uses_dynamic_stack: false
    .vgpr_count:     128
    .vgpr_spill_count: 4
    .wavefront_size: 64
  - .agpr_count:     0
    .args:
      - .offset:         0
        .size:           48
        .value_kind:     by_value
      - .offset:         48
        .size:           48
        .value_kind:     by_value
      - .offset:         96
        .size:           48
        .value_kind:     by_value
      - .offset:         144
        .size:           4
        .value_kind:     by_value
      - .offset:         148
        .size:           4
        .value_kind:     by_value
      - .offset:         152
        .size:           4
        .value_kind:     by_value
      - .offset:         156
        .size:           4
        .value_kind:     by_value
      - .offset:         160
        .size:           4
        .value_kind:     by_value
      - .offset:         164
        .size:           4
        .value_kind:     by_value
      - .offset:         168
        .size:           4
        .value_kind:     by_value
      - .offset:         172
        .size:           4
        .value_kind:     by_value
      - .offset:         176
        .size:           4
        .value_kind:     by_value
      - .offset:         184
        .size:           4
        .value_kind:     hidden_block_count_x
      - .offset:         188
        .size:           4
        .value_kind:     hidden_block_count_y
      - .offset:         192
        .size:           4
        .value_kind:     hidden_block_count_z
      - .offset:         196
        .size:           2
        .value_kind:     hidden_group_size_x
      - .offset:         198
        .size:           2
        .value_kind:     hidden_group_size_y
      - .offset:         200
        .size:           2
        .value_kind:     hidden_group_size_z
      - .offset:         202
        .size:           2
        .value_kind:     hidden_remainder_x
      - .offset:         204
        .size:           2
        .value_kind:     hidden_remainder_y
      - .offset:         206
        .size:           2
        .value_kind:     hidden_remainder_z
      - .offset:         224
        .size:           8
        .value_kind:     hidden_global_offset_x
      - .offset:         232
        .size:           8
        .value_kind:     hidden_global_offset_y
      - .offset:         240
        .size:           8
        .value_kind:     hidden_global_offset_z
      - .offset:         248
        .size:           2
        .value_kind:     hidden_grid_dims
    .group_segment_fixed_size: 0
    .kernarg_segment_align: 8
    .kernarg_segment_size: 440
    .language:       OpenCL C
    .language_version:
      - 2
      - 0
    .max_flat_workgroup_size: 1024
    .name:           _ZN2at6native12_GLOBAL__N_143conv_depthwise3d_cuda_backward_input_kernelIN3c104HalfEfLi3ELi3ELi3ELin1ELin1ELin1ELi1ELi1ELi1EEEvN5torch10headeronly6detail27GenericPackedTensorAccessorINS7_14TensorAccessorINS3_8ArrayRefIlEEKT_Lm4ENS6_16DefaultPtrTraitsEiEENS_6detail16IndexBoundsCheckILm5EiEESD_Lm5ESE_iEENS8_INS9_ISB_SC_Lm4ESE_iEESI_SC_Lm5ESE_iEESJ_iiiiiiiii
    .private_segment_fixed_size: 12
    .sgpr_count:     104
    .sgpr_spill_count: 15
    .symbol:         _ZN2at6native12_GLOBAL__N_143conv_depthwise3d_cuda_backward_input_kernelIN3c104HalfEfLi3ELi3ELi3ELin1ELin1ELin1ELi1ELi1ELi1EEEvN5torch10headeronly6detail27GenericPackedTensorAccessorINS7_14TensorAccessorINS3_8ArrayRefIlEEKT_Lm4ENS6_16DefaultPtrTraitsEiEENS_6detail16IndexBoundsCheckILm5EiEESD_Lm5ESE_iEENS8_INS9_ISB_SC_Lm4ESE_iEESI_SC_Lm5ESE_iEESJ_iiiiiiiii.kd
    .uniform_work_group_size: 1
    .uses_dynamic_stack: false
    .vgpr_count:     128
    .vgpr_spill_count: 2
    .wavefront_size: 64
  - .agpr_count:     0
    .args:
      - .offset:         0
        .size:           48
        .value_kind:     by_value
      - .offset:         48
        .size:           48
        .value_kind:     by_value
      - .offset:         96
        .size:           48
        .value_kind:     by_value
      - .offset:         144
        .size:           4
        .value_kind:     by_value
      - .offset:         148
        .size:           4
        .value_kind:     by_value
      - .offset:         152
        .size:           4
        .value_kind:     by_value
      - .offset:         156
        .size:           4
        .value_kind:     by_value
      - .offset:         160
        .size:           4
        .value_kind:     by_value
      - .offset:         164
        .size:           4
        .value_kind:     by_value
      - .offset:         168
        .size:           4
        .value_kind:     by_value
      - .offset:         172
        .size:           4
        .value_kind:     by_value
      - .offset:         176
        .size:           4
        .value_kind:     by_value
      - .offset:         184
        .size:           4
        .value_kind:     hidden_block_count_x
      - .offset:         188
        .size:           4
        .value_kind:     hidden_block_count_y
      - .offset:         192
        .size:           4
        .value_kind:     hidden_block_count_z
      - .offset:         196
        .size:           2
        .value_kind:     hidden_group_size_x
      - .offset:         198
        .size:           2
        .value_kind:     hidden_group_size_y
      - .offset:         200
        .size:           2
        .value_kind:     hidden_group_size_z
      - .offset:         202
        .size:           2
        .value_kind:     hidden_remainder_x
      - .offset:         204
        .size:           2
        .value_kind:     hidden_remainder_y
      - .offset:         206
        .size:           2
        .value_kind:     hidden_remainder_z
      - .offset:         224
        .size:           8
        .value_kind:     hidden_global_offset_x
      - .offset:         232
        .size:           8
        .value_kind:     hidden_global_offset_y
      - .offset:         240
        .size:           8
        .value_kind:     hidden_global_offset_z
      - .offset:         248
        .size:           2
        .value_kind:     hidden_grid_dims
    .group_segment_fixed_size: 0
    .kernarg_segment_align: 8
    .kernarg_segment_size: 440
    .language:       OpenCL C
    .language_version:
      - 2
      - 0
    .max_flat_workgroup_size: 1024
    .name:           _ZN2at6native12_GLOBAL__N_143conv_depthwise3d_cuda_backward_input_kernelIN3c104HalfEfLi3ELi3ELi3ELin1ELin1ELin1ELin1ELin1ELin1EEEvN5torch10headeronly6detail27GenericPackedTensorAccessorINS7_14TensorAccessorINS3_8ArrayRefIlEEKT_Lm4ENS6_16DefaultPtrTraitsEiEENS_6detail16IndexBoundsCheckILm5EiEESD_Lm5ESE_iEENS8_INS9_ISB_SC_Lm4ESE_iEESI_SC_Lm5ESE_iEESJ_iiiiiiiii
    .private_segment_fixed_size: 20
    .sgpr_count:     104
    .sgpr_spill_count: 75
    .symbol:         _ZN2at6native12_GLOBAL__N_143conv_depthwise3d_cuda_backward_input_kernelIN3c104HalfEfLi3ELi3ELi3ELin1ELin1ELin1ELin1ELin1ELin1EEEvN5torch10headeronly6detail27GenericPackedTensorAccessorINS7_14TensorAccessorINS3_8ArrayRefIlEEKT_Lm4ENS6_16DefaultPtrTraitsEiEENS_6detail16IndexBoundsCheckILm5EiEESD_Lm5ESE_iEENS8_INS9_ISB_SC_Lm4ESE_iEESI_SC_Lm5ESE_iEESJ_iiiiiiiii.kd
    .uniform_work_group_size: 1
    .uses_dynamic_stack: false
    .vgpr_count:     128
    .vgpr_spill_count: 4
    .wavefront_size: 64
  - .agpr_count:     0
    .args:
      - .offset:         0
        .size:           48
        .value_kind:     by_value
      - .offset:         48
        .size:           48
        .value_kind:     by_value
      - .offset:         96
        .size:           48
        .value_kind:     by_value
      - .offset:         144
        .size:           4
        .value_kind:     by_value
      - .offset:         148
        .size:           4
        .value_kind:     by_value
      - .offset:         152
        .size:           4
        .value_kind:     by_value
      - .offset:         156
        .size:           4
        .value_kind:     by_value
      - .offset:         160
        .size:           4
        .value_kind:     by_value
      - .offset:         164
        .size:           4
        .value_kind:     by_value
      - .offset:         168
        .size:           4
        .value_kind:     by_value
      - .offset:         172
        .size:           4
        .value_kind:     by_value
      - .offset:         176
        .size:           4
        .value_kind:     by_value
      - .offset:         184
        .size:           4
        .value_kind:     hidden_block_count_x
      - .offset:         188
        .size:           4
        .value_kind:     hidden_block_count_y
      - .offset:         192
        .size:           4
        .value_kind:     hidden_block_count_z
      - .offset:         196
        .size:           2
        .value_kind:     hidden_group_size_x
      - .offset:         198
        .size:           2
        .value_kind:     hidden_group_size_y
      - .offset:         200
        .size:           2
        .value_kind:     hidden_group_size_z
      - .offset:         202
        .size:           2
        .value_kind:     hidden_remainder_x
      - .offset:         204
        .size:           2
        .value_kind:     hidden_remainder_y
      - .offset:         206
        .size:           2
        .value_kind:     hidden_remainder_z
      - .offset:         224
        .size:           8
        .value_kind:     hidden_global_offset_x
      - .offset:         232
        .size:           8
        .value_kind:     hidden_global_offset_y
      - .offset:         240
        .size:           8
        .value_kind:     hidden_global_offset_z
      - .offset:         248
        .size:           2
        .value_kind:     hidden_grid_dims
    .group_segment_fixed_size: 0
    .kernarg_segment_align: 8
    .kernarg_segment_size: 440
    .language:       OpenCL C
    .language_version:
      - 2
      - 0
    .max_flat_workgroup_size: 1024
    .name:           _ZN2at6native12_GLOBAL__N_143conv_depthwise3d_cuda_backward_input_kernelIN3c104HalfEfLin1ELin1ELin1ELin1ELin1ELin1ELin1ELin1ELin1EEEvN5torch10headeronly6detail27GenericPackedTensorAccessorINS7_14TensorAccessorINS3_8ArrayRefIlEEKT_Lm4ENS6_16DefaultPtrTraitsEiEENS_6detail16IndexBoundsCheckILm5EiEESD_Lm5ESE_iEENS8_INS9_ISB_SC_Lm4ESE_iEESI_SC_Lm5ESE_iEESJ_iiiiiiiii
    .private_segment_fixed_size: 0
    .sgpr_count:     86
    .sgpr_spill_count: 0
    .symbol:         _ZN2at6native12_GLOBAL__N_143conv_depthwise3d_cuda_backward_input_kernelIN3c104HalfEfLin1ELin1ELin1ELin1ELin1ELin1ELin1ELin1ELin1EEEvN5torch10headeronly6detail27GenericPackedTensorAccessorINS7_14TensorAccessorINS3_8ArrayRefIlEEKT_Lm4ENS6_16DefaultPtrTraitsEiEENS_6detail16IndexBoundsCheckILm5EiEESD_Lm5ESE_iEENS8_INS9_ISB_SC_Lm4ESE_iEESI_SC_Lm5ESE_iEESJ_iiiiiiiii.kd
    .uniform_work_group_size: 1
    .uses_dynamic_stack: false
    .vgpr_count:     34
    .vgpr_spill_count: 0
    .wavefront_size: 64
  - .agpr_count:     0
    .args:
      - .offset:         0
        .size:           48
        .value_kind:     by_value
      - .offset:         48
        .size:           48
        .value_kind:     by_value
      - .offset:         96
        .size:           48
        .value_kind:     by_value
      - .offset:         144
        .size:           4
        .value_kind:     by_value
      - .offset:         148
        .size:           4
        .value_kind:     by_value
      - .offset:         152
        .size:           4
        .value_kind:     by_value
      - .offset:         156
        .size:           4
        .value_kind:     by_value
      - .offset:         160
        .size:           4
        .value_kind:     by_value
      - .offset:         164
        .size:           4
        .value_kind:     by_value
      - .offset:         168
        .size:           4
        .value_kind:     by_value
      - .offset:         172
        .size:           4
        .value_kind:     by_value
      - .offset:         176
        .size:           4
        .value_kind:     by_value
      - .offset:         184
        .size:           4
        .value_kind:     hidden_block_count_x
      - .offset:         188
        .size:           4
        .value_kind:     hidden_block_count_y
      - .offset:         192
        .size:           4
        .value_kind:     hidden_block_count_z
      - .offset:         196
        .size:           2
        .value_kind:     hidden_group_size_x
      - .offset:         198
        .size:           2
        .value_kind:     hidden_group_size_y
      - .offset:         200
        .size:           2
        .value_kind:     hidden_group_size_z
      - .offset:         202
        .size:           2
        .value_kind:     hidden_remainder_x
      - .offset:         204
        .size:           2
        .value_kind:     hidden_remainder_y
      - .offset:         206
        .size:           2
        .value_kind:     hidden_remainder_z
      - .offset:         224
        .size:           8
        .value_kind:     hidden_global_offset_x
      - .offset:         232
        .size:           8
        .value_kind:     hidden_global_offset_y
      - .offset:         240
        .size:           8
        .value_kind:     hidden_global_offset_z
      - .offset:         248
        .size:           2
        .value_kind:     hidden_grid_dims
    .group_segment_fixed_size: 0
    .kernarg_segment_align: 8
    .kernarg_segment_size: 440
    .language:       OpenCL C
    .language_version:
      - 2
      - 0
    .max_flat_workgroup_size: 1024
    .name:           _ZN2at6native12_GLOBAL__N_143conv_depthwise3d_cuda_backward_input_kernelIN3c108BFloat16EfLi3ELi3ELi3ELi1ELi1ELi1ELi1ELi1ELi1EEEvN5torch10headeronly6detail27GenericPackedTensorAccessorINS7_14TensorAccessorINS3_8ArrayRefIlEEKT_Lm4ENS6_16DefaultPtrTraitsEiEENS_6detail16IndexBoundsCheckILm5EiEESD_Lm5ESE_iEENS8_INS9_ISB_SC_Lm4ESE_iEESI_SC_Lm5ESE_iEESJ_iiiiiiiii
    .private_segment_fixed_size: 12
    .sgpr_count:     104
    .sgpr_spill_count: 10
    .symbol:         _ZN2at6native12_GLOBAL__N_143conv_depthwise3d_cuda_backward_input_kernelIN3c108BFloat16EfLi3ELi3ELi3ELi1ELi1ELi1ELi1ELi1ELi1EEEvN5torch10headeronly6detail27GenericPackedTensorAccessorINS7_14TensorAccessorINS3_8ArrayRefIlEEKT_Lm4ENS6_16DefaultPtrTraitsEiEENS_6detail16IndexBoundsCheckILm5EiEESD_Lm5ESE_iEENS8_INS9_ISB_SC_Lm4ESE_iEESI_SC_Lm5ESE_iEESJ_iiiiiiiii.kd
    .uniform_work_group_size: 1
    .uses_dynamic_stack: false
    .vgpr_count:     128
    .vgpr_spill_count: 2
    .wavefront_size: 64
  - .agpr_count:     0
    .args:
      - .offset:         0
        .size:           48
        .value_kind:     by_value
      - .offset:         48
        .size:           48
        .value_kind:     by_value
      - .offset:         96
        .size:           48
        .value_kind:     by_value
      - .offset:         144
        .size:           4
        .value_kind:     by_value
      - .offset:         148
        .size:           4
        .value_kind:     by_value
      - .offset:         152
        .size:           4
        .value_kind:     by_value
      - .offset:         156
        .size:           4
        .value_kind:     by_value
      - .offset:         160
        .size:           4
        .value_kind:     by_value
      - .offset:         164
        .size:           4
        .value_kind:     by_value
      - .offset:         168
        .size:           4
        .value_kind:     by_value
      - .offset:         172
        .size:           4
        .value_kind:     by_value
      - .offset:         176
        .size:           4
        .value_kind:     by_value
      - .offset:         184
        .size:           4
        .value_kind:     hidden_block_count_x
      - .offset:         188
        .size:           4
        .value_kind:     hidden_block_count_y
      - .offset:         192
        .size:           4
        .value_kind:     hidden_block_count_z
      - .offset:         196
        .size:           2
        .value_kind:     hidden_group_size_x
      - .offset:         198
        .size:           2
        .value_kind:     hidden_group_size_y
      - .offset:         200
        .size:           2
        .value_kind:     hidden_group_size_z
      - .offset:         202
        .size:           2
        .value_kind:     hidden_remainder_x
      - .offset:         204
        .size:           2
        .value_kind:     hidden_remainder_y
      - .offset:         206
        .size:           2
        .value_kind:     hidden_remainder_z
      - .offset:         224
        .size:           8
        .value_kind:     hidden_global_offset_x
      - .offset:         232
        .size:           8
        .value_kind:     hidden_global_offset_y
      - .offset:         240
        .size:           8
        .value_kind:     hidden_global_offset_z
      - .offset:         248
        .size:           2
        .value_kind:     hidden_grid_dims
    .group_segment_fixed_size: 0
    .kernarg_segment_align: 8
    .kernarg_segment_size: 440
    .language:       OpenCL C
    .language_version:
      - 2
      - 0
    .max_flat_workgroup_size: 1024
    .name:           _ZN2at6native12_GLOBAL__N_143conv_depthwise3d_cuda_backward_input_kernelIN3c108BFloat16EfLi3ELi3ELi3ELi1ELi1ELi1ELin1ELin1ELin1EEEvN5torch10headeronly6detail27GenericPackedTensorAccessorINS7_14TensorAccessorINS3_8ArrayRefIlEEKT_Lm4ENS6_16DefaultPtrTraitsEiEENS_6detail16IndexBoundsCheckILm5EiEESD_Lm5ESE_iEENS8_INS9_ISB_SC_Lm4ESE_iEESI_SC_Lm5ESE_iEESJ_iiiiiiiii
    .private_segment_fixed_size: 28
    .sgpr_count:     104
    .sgpr_spill_count: 69
    .symbol:         _ZN2at6native12_GLOBAL__N_143conv_depthwise3d_cuda_backward_input_kernelIN3c108BFloat16EfLi3ELi3ELi3ELi1ELi1ELi1ELin1ELin1ELin1EEEvN5torch10headeronly6detail27GenericPackedTensorAccessorINS7_14TensorAccessorINS3_8ArrayRefIlEEKT_Lm4ENS6_16DefaultPtrTraitsEiEENS_6detail16IndexBoundsCheckILm5EiEESD_Lm5ESE_iEENS8_INS9_ISB_SC_Lm4ESE_iEESI_SC_Lm5ESE_iEESJ_iiiiiiiii.kd
    .uniform_work_group_size: 1
    .uses_dynamic_stack: false
    .vgpr_count:     128
    .vgpr_spill_count: 6
    .wavefront_size: 64
  - .agpr_count:     0
    .args:
      - .offset:         0
        .size:           48
        .value_kind:     by_value
      - .offset:         48
        .size:           48
        .value_kind:     by_value
      - .offset:         96
        .size:           48
        .value_kind:     by_value
      - .offset:         144
        .size:           4
        .value_kind:     by_value
      - .offset:         148
        .size:           4
        .value_kind:     by_value
      - .offset:         152
        .size:           4
        .value_kind:     by_value
      - .offset:         156
        .size:           4
        .value_kind:     by_value
      - .offset:         160
        .size:           4
        .value_kind:     by_value
      - .offset:         164
        .size:           4
        .value_kind:     by_value
      - .offset:         168
        .size:           4
        .value_kind:     by_value
      - .offset:         172
        .size:           4
        .value_kind:     by_value
      - .offset:         176
        .size:           4
        .value_kind:     by_value
      - .offset:         184
        .size:           4
        .value_kind:     hidden_block_count_x
      - .offset:         188
        .size:           4
        .value_kind:     hidden_block_count_y
      - .offset:         192
        .size:           4
        .value_kind:     hidden_block_count_z
      - .offset:         196
        .size:           2
        .value_kind:     hidden_group_size_x
      - .offset:         198
        .size:           2
        .value_kind:     hidden_group_size_y
      - .offset:         200
        .size:           2
        .value_kind:     hidden_group_size_z
      - .offset:         202
        .size:           2
        .value_kind:     hidden_remainder_x
      - .offset:         204
        .size:           2
        .value_kind:     hidden_remainder_y
      - .offset:         206
        .size:           2
        .value_kind:     hidden_remainder_z
      - .offset:         224
        .size:           8
        .value_kind:     hidden_global_offset_x
      - .offset:         232
        .size:           8
        .value_kind:     hidden_global_offset_y
      - .offset:         240
        .size:           8
        .value_kind:     hidden_global_offset_z
      - .offset:         248
        .size:           2
        .value_kind:     hidden_grid_dims
    .group_segment_fixed_size: 0
    .kernarg_segment_align: 8
    .kernarg_segment_size: 440
    .language:       OpenCL C
    .language_version:
      - 2
      - 0
    .max_flat_workgroup_size: 1024
    .name:           _ZN2at6native12_GLOBAL__N_143conv_depthwise3d_cuda_backward_input_kernelIN3c108BFloat16EfLi3ELi3ELi3ELin1ELin1ELin1ELi1ELi1ELi1EEEvN5torch10headeronly6detail27GenericPackedTensorAccessorINS7_14TensorAccessorINS3_8ArrayRefIlEEKT_Lm4ENS6_16DefaultPtrTraitsEiEENS_6detail16IndexBoundsCheckILm5EiEESD_Lm5ESE_iEENS8_INS9_ISB_SC_Lm4ESE_iEESI_SC_Lm5ESE_iEESJ_iiiiiiiii
    .private_segment_fixed_size: 12
    .sgpr_count:     104
    .sgpr_spill_count: 16
    .symbol:         _ZN2at6native12_GLOBAL__N_143conv_depthwise3d_cuda_backward_input_kernelIN3c108BFloat16EfLi3ELi3ELi3ELin1ELin1ELin1ELi1ELi1ELi1EEEvN5torch10headeronly6detail27GenericPackedTensorAccessorINS7_14TensorAccessorINS3_8ArrayRefIlEEKT_Lm4ENS6_16DefaultPtrTraitsEiEENS_6detail16IndexBoundsCheckILm5EiEESD_Lm5ESE_iEENS8_INS9_ISB_SC_Lm4ESE_iEESI_SC_Lm5ESE_iEESJ_iiiiiiiii.kd
    .uniform_work_group_size: 1
    .uses_dynamic_stack: false
    .vgpr_count:     128
    .vgpr_spill_count: 2
    .wavefront_size: 64
  - .agpr_count:     0
    .args:
      - .offset:         0
        .size:           48
        .value_kind:     by_value
      - .offset:         48
        .size:           48
        .value_kind:     by_value
      - .offset:         96
        .size:           48
        .value_kind:     by_value
      - .offset:         144
        .size:           4
        .value_kind:     by_value
      - .offset:         148
        .size:           4
        .value_kind:     by_value
      - .offset:         152
        .size:           4
        .value_kind:     by_value
      - .offset:         156
        .size:           4
        .value_kind:     by_value
      - .offset:         160
        .size:           4
        .value_kind:     by_value
      - .offset:         164
        .size:           4
        .value_kind:     by_value
      - .offset:         168
        .size:           4
        .value_kind:     by_value
      - .offset:         172
        .size:           4
        .value_kind:     by_value
      - .offset:         176
        .size:           4
        .value_kind:     by_value
      - .offset:         184
        .size:           4
        .value_kind:     hidden_block_count_x
      - .offset:         188
        .size:           4
        .value_kind:     hidden_block_count_y
      - .offset:         192
        .size:           4
        .value_kind:     hidden_block_count_z
      - .offset:         196
        .size:           2
        .value_kind:     hidden_group_size_x
      - .offset:         198
        .size:           2
        .value_kind:     hidden_group_size_y
      - .offset:         200
        .size:           2
        .value_kind:     hidden_group_size_z
      - .offset:         202
        .size:           2
        .value_kind:     hidden_remainder_x
      - .offset:         204
        .size:           2
        .value_kind:     hidden_remainder_y
      - .offset:         206
        .size:           2
        .value_kind:     hidden_remainder_z
      - .offset:         224
        .size:           8
        .value_kind:     hidden_global_offset_x
      - .offset:         232
        .size:           8
        .value_kind:     hidden_global_offset_y
      - .offset:         240
        .size:           8
        .value_kind:     hidden_global_offset_z
      - .offset:         248
        .size:           2
        .value_kind:     hidden_grid_dims
    .group_segment_fixed_size: 0
    .kernarg_segment_align: 8
    .kernarg_segment_size: 440
    .language:       OpenCL C
    .language_version:
      - 2
      - 0
    .max_flat_workgroup_size: 1024
    .name:           _ZN2at6native12_GLOBAL__N_143conv_depthwise3d_cuda_backward_input_kernelIN3c108BFloat16EfLi3ELi3ELi3ELin1ELin1ELin1ELin1ELin1ELin1EEEvN5torch10headeronly6detail27GenericPackedTensorAccessorINS7_14TensorAccessorINS3_8ArrayRefIlEEKT_Lm4ENS6_16DefaultPtrTraitsEiEENS_6detail16IndexBoundsCheckILm5EiEESD_Lm5ESE_iEENS8_INS9_ISB_SC_Lm4ESE_iEESI_SC_Lm5ESE_iEESJ_iiiiiiiii
    .private_segment_fixed_size: 28
    .sgpr_count:     104
    .sgpr_spill_count: 75
    .symbol:         _ZN2at6native12_GLOBAL__N_143conv_depthwise3d_cuda_backward_input_kernelIN3c108BFloat16EfLi3ELi3ELi3ELin1ELin1ELin1ELin1ELin1ELin1EEEvN5torch10headeronly6detail27GenericPackedTensorAccessorINS7_14TensorAccessorINS3_8ArrayRefIlEEKT_Lm4ENS6_16DefaultPtrTraitsEiEENS_6detail16IndexBoundsCheckILm5EiEESD_Lm5ESE_iEENS8_INS9_ISB_SC_Lm4ESE_iEESI_SC_Lm5ESE_iEESJ_iiiiiiiii.kd
    .uniform_work_group_size: 1
    .uses_dynamic_stack: false
    .vgpr_count:     128
    .vgpr_spill_count: 6
    .wavefront_size: 64
  - .agpr_count:     0
    .args:
      - .offset:         0
        .size:           48
        .value_kind:     by_value
      - .offset:         48
        .size:           48
        .value_kind:     by_value
      - .offset:         96
        .size:           48
        .value_kind:     by_value
      - .offset:         144
        .size:           4
        .value_kind:     by_value
      - .offset:         148
        .size:           4
        .value_kind:     by_value
      - .offset:         152
        .size:           4
        .value_kind:     by_value
      - .offset:         156
        .size:           4
        .value_kind:     by_value
      - .offset:         160
        .size:           4
        .value_kind:     by_value
      - .offset:         164
        .size:           4
        .value_kind:     by_value
      - .offset:         168
        .size:           4
        .value_kind:     by_value
      - .offset:         172
        .size:           4
        .value_kind:     by_value
      - .offset:         176
        .size:           4
        .value_kind:     by_value
      - .offset:         184
        .size:           4
        .value_kind:     hidden_block_count_x
      - .offset:         188
        .size:           4
        .value_kind:     hidden_block_count_y
      - .offset:         192
        .size:           4
        .value_kind:     hidden_block_count_z
      - .offset:         196
        .size:           2
        .value_kind:     hidden_group_size_x
      - .offset:         198
        .size:           2
        .value_kind:     hidden_group_size_y
      - .offset:         200
        .size:           2
        .value_kind:     hidden_group_size_z
      - .offset:         202
        .size:           2
        .value_kind:     hidden_remainder_x
      - .offset:         204
        .size:           2
        .value_kind:     hidden_remainder_y
      - .offset:         206
        .size:           2
        .value_kind:     hidden_remainder_z
      - .offset:         224
        .size:           8
        .value_kind:     hidden_global_offset_x
      - .offset:         232
        .size:           8
        .value_kind:     hidden_global_offset_y
      - .offset:         240
        .size:           8
        .value_kind:     hidden_global_offset_z
      - .offset:         248
        .size:           2
        .value_kind:     hidden_grid_dims
    .group_segment_fixed_size: 0
    .kernarg_segment_align: 8
    .kernarg_segment_size: 440
    .language:       OpenCL C
    .language_version:
      - 2
      - 0
    .max_flat_workgroup_size: 1024
    .name:           _ZN2at6native12_GLOBAL__N_143conv_depthwise3d_cuda_backward_input_kernelIN3c108BFloat16EfLin1ELin1ELin1ELin1ELin1ELin1ELin1ELin1ELin1EEEvN5torch10headeronly6detail27GenericPackedTensorAccessorINS7_14TensorAccessorINS3_8ArrayRefIlEEKT_Lm4ENS6_16DefaultPtrTraitsEiEENS_6detail16IndexBoundsCheckILm5EiEESD_Lm5ESE_iEENS8_INS9_ISB_SC_Lm4ESE_iEESI_SC_Lm5ESE_iEESJ_iiiiiiiii
    .private_segment_fixed_size: 0
    .sgpr_count:     87
    .sgpr_spill_count: 0
    .symbol:         _ZN2at6native12_GLOBAL__N_143conv_depthwise3d_cuda_backward_input_kernelIN3c108BFloat16EfLin1ELin1ELin1ELin1ELin1ELin1ELin1ELin1ELin1EEEvN5torch10headeronly6detail27GenericPackedTensorAccessorINS7_14TensorAccessorINS3_8ArrayRefIlEEKT_Lm4ENS6_16DefaultPtrTraitsEiEENS_6detail16IndexBoundsCheckILm5EiEESD_Lm5ESE_iEENS8_INS9_ISB_SC_Lm4ESE_iEESI_SC_Lm5ESE_iEESJ_iiiiiiiii.kd
    .uniform_work_group_size: 1
    .uses_dynamic_stack: false
    .vgpr_count:     35
    .vgpr_spill_count: 0
    .wavefront_size: 64
  - .agpr_count:     0
    .args:
      - .offset:         0
        .size:           48
        .value_kind:     by_value
      - .offset:         48
        .size:           48
        .value_kind:     by_value
      - .offset:         96
        .size:           48
        .value_kind:     by_value
      - .offset:         144
        .size:           4
        .value_kind:     by_value
      - .offset:         148
        .size:           4
        .value_kind:     by_value
      - .offset:         152
        .size:           4
        .value_kind:     by_value
      - .offset:         156
        .size:           4
        .value_kind:     by_value
      - .offset:         160
        .size:           4
        .value_kind:     by_value
      - .offset:         164
        .size:           4
        .value_kind:     by_value
      - .offset:         168
        .size:           4
        .value_kind:     by_value
      - .offset:         172
        .size:           4
        .value_kind:     by_value
      - .offset:         176
        .size:           4
        .value_kind:     by_value
      - .offset:         184
        .size:           4
        .value_kind:     hidden_block_count_x
      - .offset:         188
        .size:           4
        .value_kind:     hidden_block_count_y
      - .offset:         192
        .size:           4
        .value_kind:     hidden_block_count_z
      - .offset:         196
        .size:           2
        .value_kind:     hidden_group_size_x
      - .offset:         198
        .size:           2
        .value_kind:     hidden_group_size_y
      - .offset:         200
        .size:           2
        .value_kind:     hidden_group_size_z
      - .offset:         202
        .size:           2
        .value_kind:     hidden_remainder_x
      - .offset:         204
        .size:           2
        .value_kind:     hidden_remainder_y
      - .offset:         206
        .size:           2
        .value_kind:     hidden_remainder_z
      - .offset:         224
        .size:           8
        .value_kind:     hidden_global_offset_x
      - .offset:         232
        .size:           8
        .value_kind:     hidden_global_offset_y
      - .offset:         240
        .size:           8
        .value_kind:     hidden_global_offset_z
      - .offset:         248
        .size:           2
        .value_kind:     hidden_grid_dims
      - .offset:         304
        .size:           4
        .value_kind:     hidden_dynamic_lds_size
    .group_segment_fixed_size: 0
    .kernarg_segment_align: 8
    .kernarg_segment_size: 440
    .language:       OpenCL C
    .language_version:
      - 2
      - 0
    .max_flat_workgroup_size: 1024
    .name:           _ZN2at6native12_GLOBAL__N_144conv_depthwise3d_cuda_backward_weight_kernelIddLi1ELi1EEEvN5torch10headeronly6detail27GenericPackedTensorAccessorINS5_14TensorAccessorIN3c108ArrayRefIlEEKT_Lm4ENS4_16DefaultPtrTraitsEiEENS_6detail16IndexBoundsCheckILm5EiEESC_Lm5ESD_iEESI_NS6_INS7_ISA_SB_Lm4ESD_iEESH_SB_Lm5ESD_iEEiiiiiiiii
    .private_segment_fixed_size: 0
    .sgpr_count:     54
    .sgpr_spill_count: 0
    .symbol:         _ZN2at6native12_GLOBAL__N_144conv_depthwise3d_cuda_backward_weight_kernelIddLi1ELi1EEEvN5torch10headeronly6detail27GenericPackedTensorAccessorINS5_14TensorAccessorIN3c108ArrayRefIlEEKT_Lm4ENS4_16DefaultPtrTraitsEiEENS_6detail16IndexBoundsCheckILm5EiEESC_Lm5ESD_iEESI_NS6_INS7_ISA_SB_Lm4ESD_iEESH_SB_Lm5ESD_iEEiiiiiiiii.kd
    .uniform_work_group_size: 1
    .uses_dynamic_stack: false
    .vgpr_count:     22
    .vgpr_spill_count: 0
    .wavefront_size: 64
  - .agpr_count:     0
    .args:
      - .offset:         0
        .size:           48
        .value_kind:     by_value
      - .offset:         48
        .size:           48
        .value_kind:     by_value
      - .offset:         96
        .size:           48
        .value_kind:     by_value
      - .offset:         144
        .size:           4
        .value_kind:     by_value
      - .offset:         148
        .size:           4
        .value_kind:     by_value
      - .offset:         152
        .size:           4
        .value_kind:     by_value
      - .offset:         156
        .size:           4
        .value_kind:     by_value
      - .offset:         160
        .size:           4
        .value_kind:     by_value
      - .offset:         164
        .size:           4
        .value_kind:     by_value
      - .offset:         168
        .size:           4
        .value_kind:     by_value
      - .offset:         172
        .size:           4
        .value_kind:     by_value
      - .offset:         176
        .size:           4
        .value_kind:     by_value
      - .offset:         184
        .size:           4
        .value_kind:     hidden_block_count_x
      - .offset:         188
        .size:           4
        .value_kind:     hidden_block_count_y
      - .offset:         192
        .size:           4
        .value_kind:     hidden_block_count_z
      - .offset:         196
        .size:           2
        .value_kind:     hidden_group_size_x
      - .offset:         198
        .size:           2
        .value_kind:     hidden_group_size_y
      - .offset:         200
        .size:           2
        .value_kind:     hidden_group_size_z
      - .offset:         202
        .size:           2
        .value_kind:     hidden_remainder_x
      - .offset:         204
        .size:           2
        .value_kind:     hidden_remainder_y
      - .offset:         206
        .size:           2
        .value_kind:     hidden_remainder_z
      - .offset:         224
        .size:           8
        .value_kind:     hidden_global_offset_x
      - .offset:         232
        .size:           8
        .value_kind:     hidden_global_offset_y
      - .offset:         240
        .size:           8
        .value_kind:     hidden_global_offset_z
      - .offset:         248
        .size:           2
        .value_kind:     hidden_grid_dims
      - .offset:         304
        .size:           4
        .value_kind:     hidden_dynamic_lds_size
    .group_segment_fixed_size: 0
    .kernarg_segment_align: 8
    .kernarg_segment_size: 440
    .language:       OpenCL C
    .language_version:
      - 2
      - 0
    .max_flat_workgroup_size: 1024
    .name:           _ZN2at6native12_GLOBAL__N_144conv_depthwise3d_cuda_backward_weight_kernelIddLi2ELi2EEEvN5torch10headeronly6detail27GenericPackedTensorAccessorINS5_14TensorAccessorIN3c108ArrayRefIlEEKT_Lm4ENS4_16DefaultPtrTraitsEiEENS_6detail16IndexBoundsCheckILm5EiEESC_Lm5ESD_iEESI_NS6_INS7_ISA_SB_Lm4ESD_iEESH_SB_Lm5ESD_iEEiiiiiiiii
    .private_segment_fixed_size: 0
    .sgpr_count:     54
    .sgpr_spill_count: 0
    .symbol:         _ZN2at6native12_GLOBAL__N_144conv_depthwise3d_cuda_backward_weight_kernelIddLi2ELi2EEEvN5torch10headeronly6detail27GenericPackedTensorAccessorINS5_14TensorAccessorIN3c108ArrayRefIlEEKT_Lm4ENS4_16DefaultPtrTraitsEiEENS_6detail16IndexBoundsCheckILm5EiEESC_Lm5ESD_iEESI_NS6_INS7_ISA_SB_Lm4ESD_iEESH_SB_Lm5ESD_iEEiiiiiiiii.kd
    .uniform_work_group_size: 1
    .uses_dynamic_stack: false
    .vgpr_count:     22
    .vgpr_spill_count: 0
    .wavefront_size: 64
  - .agpr_count:     0
    .args:
      - .offset:         0
        .size:           48
        .value_kind:     by_value
      - .offset:         48
        .size:           48
        .value_kind:     by_value
      - .offset:         96
        .size:           48
        .value_kind:     by_value
      - .offset:         144
        .size:           4
        .value_kind:     by_value
      - .offset:         148
        .size:           4
        .value_kind:     by_value
      - .offset:         152
        .size:           4
        .value_kind:     by_value
      - .offset:         156
        .size:           4
        .value_kind:     by_value
      - .offset:         160
        .size:           4
        .value_kind:     by_value
      - .offset:         164
        .size:           4
        .value_kind:     by_value
      - .offset:         168
        .size:           4
        .value_kind:     by_value
      - .offset:         172
        .size:           4
        .value_kind:     by_value
      - .offset:         176
        .size:           4
        .value_kind:     by_value
      - .offset:         184
        .size:           4
        .value_kind:     hidden_block_count_x
      - .offset:         188
        .size:           4
        .value_kind:     hidden_block_count_y
      - .offset:         192
        .size:           4
        .value_kind:     hidden_block_count_z
      - .offset:         196
        .size:           2
        .value_kind:     hidden_group_size_x
      - .offset:         198
        .size:           2
        .value_kind:     hidden_group_size_y
      - .offset:         200
        .size:           2
        .value_kind:     hidden_group_size_z
      - .offset:         202
        .size:           2
        .value_kind:     hidden_remainder_x
      - .offset:         204
        .size:           2
        .value_kind:     hidden_remainder_y
      - .offset:         206
        .size:           2
        .value_kind:     hidden_remainder_z
      - .offset:         224
        .size:           8
        .value_kind:     hidden_global_offset_x
      - .offset:         232
        .size:           8
        .value_kind:     hidden_global_offset_y
      - .offset:         240
        .size:           8
        .value_kind:     hidden_global_offset_z
      - .offset:         248
        .size:           2
        .value_kind:     hidden_grid_dims
      - .offset:         304
        .size:           4
        .value_kind:     hidden_dynamic_lds_size
    .group_segment_fixed_size: 0
    .kernarg_segment_align: 8
    .kernarg_segment_size: 440
    .language:       OpenCL C
    .language_version:
      - 2
      - 0
    .max_flat_workgroup_size: 1024
    .name:           _ZN2at6native12_GLOBAL__N_144conv_depthwise3d_cuda_backward_weight_kernelIddLin1ELin1EEEvN5torch10headeronly6detail27GenericPackedTensorAccessorINS5_14TensorAccessorIN3c108ArrayRefIlEEKT_Lm4ENS4_16DefaultPtrTraitsEiEENS_6detail16IndexBoundsCheckILm5EiEESC_Lm5ESD_iEESI_NS6_INS7_ISA_SB_Lm4ESD_iEESH_SB_Lm5ESD_iEEiiiiiiiii
    .private_segment_fixed_size: 0
    .sgpr_count:     56
    .sgpr_spill_count: 0
    .symbol:         _ZN2at6native12_GLOBAL__N_144conv_depthwise3d_cuda_backward_weight_kernelIddLin1ELin1EEEvN5torch10headeronly6detail27GenericPackedTensorAccessorINS5_14TensorAccessorIN3c108ArrayRefIlEEKT_Lm4ENS4_16DefaultPtrTraitsEiEENS_6detail16IndexBoundsCheckILm5EiEESC_Lm5ESD_iEESI_NS6_INS7_ISA_SB_Lm4ESD_iEESH_SB_Lm5ESD_iEEiiiiiiiii.kd
    .uniform_work_group_size: 1
    .uses_dynamic_stack: false
    .vgpr_count:     22
    .vgpr_spill_count: 0
    .wavefront_size: 64
  - .agpr_count:     0
    .args:
      - .offset:         0
        .size:           48
        .value_kind:     by_value
      - .offset:         48
        .size:           48
        .value_kind:     by_value
      - .offset:         96
        .size:           48
        .value_kind:     by_value
      - .offset:         144
        .size:           4
        .value_kind:     by_value
      - .offset:         148
        .size:           4
        .value_kind:     by_value
      - .offset:         152
        .size:           4
        .value_kind:     by_value
      - .offset:         156
        .size:           4
        .value_kind:     by_value
      - .offset:         160
        .size:           4
        .value_kind:     by_value
      - .offset:         164
        .size:           4
        .value_kind:     by_value
      - .offset:         168
        .size:           4
        .value_kind:     by_value
      - .offset:         172
        .size:           4
        .value_kind:     by_value
      - .offset:         176
        .size:           4
        .value_kind:     by_value
      - .offset:         184
        .size:           4
        .value_kind:     hidden_block_count_x
      - .offset:         188
        .size:           4
        .value_kind:     hidden_block_count_y
      - .offset:         192
        .size:           4
        .value_kind:     hidden_block_count_z
      - .offset:         196
        .size:           2
        .value_kind:     hidden_group_size_x
      - .offset:         198
        .size:           2
        .value_kind:     hidden_group_size_y
      - .offset:         200
        .size:           2
        .value_kind:     hidden_group_size_z
      - .offset:         202
        .size:           2
        .value_kind:     hidden_remainder_x
      - .offset:         204
        .size:           2
        .value_kind:     hidden_remainder_y
      - .offset:         206
        .size:           2
        .value_kind:     hidden_remainder_z
      - .offset:         224
        .size:           8
        .value_kind:     hidden_global_offset_x
      - .offset:         232
        .size:           8
        .value_kind:     hidden_global_offset_y
      - .offset:         240
        .size:           8
        .value_kind:     hidden_global_offset_z
      - .offset:         248
        .size:           2
        .value_kind:     hidden_grid_dims
      - .offset:         304
        .size:           4
        .value_kind:     hidden_dynamic_lds_size
    .group_segment_fixed_size: 0
    .kernarg_segment_align: 8
    .kernarg_segment_size: 440
    .language:       OpenCL C
    .language_version:
      - 2
      - 0
    .max_flat_workgroup_size: 1024
    .name:           _ZN2at6native12_GLOBAL__N_144conv_depthwise3d_cuda_backward_weight_kernelIffLi1ELi1EEEvN5torch10headeronly6detail27GenericPackedTensorAccessorINS5_14TensorAccessorIN3c108ArrayRefIlEEKT_Lm4ENS4_16DefaultPtrTraitsEiEENS_6detail16IndexBoundsCheckILm5EiEESC_Lm5ESD_iEESI_NS6_INS7_ISA_SB_Lm4ESD_iEESH_SB_Lm5ESD_iEEiiiiiiiii
    .private_segment_fixed_size: 0
    .sgpr_count:     54
    .sgpr_spill_count: 0
    .symbol:         _ZN2at6native12_GLOBAL__N_144conv_depthwise3d_cuda_backward_weight_kernelIffLi1ELi1EEEvN5torch10headeronly6detail27GenericPackedTensorAccessorINS5_14TensorAccessorIN3c108ArrayRefIlEEKT_Lm4ENS4_16DefaultPtrTraitsEiEENS_6detail16IndexBoundsCheckILm5EiEESC_Lm5ESD_iEESI_NS6_INS7_ISA_SB_Lm4ESD_iEESH_SB_Lm5ESD_iEEiiiiiiiii.kd
    .uniform_work_group_size: 1
    .uses_dynamic_stack: false
    .vgpr_count:     20
    .vgpr_spill_count: 0
    .wavefront_size: 64
  - .agpr_count:     0
    .args:
      - .offset:         0
        .size:           48
        .value_kind:     by_value
      - .offset:         48
        .size:           48
        .value_kind:     by_value
      - .offset:         96
        .size:           48
        .value_kind:     by_value
      - .offset:         144
        .size:           4
        .value_kind:     by_value
      - .offset:         148
        .size:           4
        .value_kind:     by_value
      - .offset:         152
        .size:           4
        .value_kind:     by_value
      - .offset:         156
        .size:           4
        .value_kind:     by_value
      - .offset:         160
        .size:           4
        .value_kind:     by_value
      - .offset:         164
        .size:           4
        .value_kind:     by_value
      - .offset:         168
        .size:           4
        .value_kind:     by_value
      - .offset:         172
        .size:           4
        .value_kind:     by_value
      - .offset:         176
        .size:           4
        .value_kind:     by_value
      - .offset:         184
        .size:           4
        .value_kind:     hidden_block_count_x
      - .offset:         188
        .size:           4
        .value_kind:     hidden_block_count_y
      - .offset:         192
        .size:           4
        .value_kind:     hidden_block_count_z
      - .offset:         196
        .size:           2
        .value_kind:     hidden_group_size_x
      - .offset:         198
        .size:           2
        .value_kind:     hidden_group_size_y
      - .offset:         200
        .size:           2
        .value_kind:     hidden_group_size_z
      - .offset:         202
        .size:           2
        .value_kind:     hidden_remainder_x
      - .offset:         204
        .size:           2
        .value_kind:     hidden_remainder_y
      - .offset:         206
        .size:           2
        .value_kind:     hidden_remainder_z
      - .offset:         224
        .size:           8
        .value_kind:     hidden_global_offset_x
      - .offset:         232
        .size:           8
        .value_kind:     hidden_global_offset_y
      - .offset:         240
        .size:           8
        .value_kind:     hidden_global_offset_z
      - .offset:         248
        .size:           2
        .value_kind:     hidden_grid_dims
      - .offset:         304
        .size:           4
        .value_kind:     hidden_dynamic_lds_size
    .group_segment_fixed_size: 0
    .kernarg_segment_align: 8
    .kernarg_segment_size: 440
    .language:       OpenCL C
    .language_version:
      - 2
      - 0
    .max_flat_workgroup_size: 1024
    .name:           _ZN2at6native12_GLOBAL__N_144conv_depthwise3d_cuda_backward_weight_kernelIffLi2ELi2EEEvN5torch10headeronly6detail27GenericPackedTensorAccessorINS5_14TensorAccessorIN3c108ArrayRefIlEEKT_Lm4ENS4_16DefaultPtrTraitsEiEENS_6detail16IndexBoundsCheckILm5EiEESC_Lm5ESD_iEESI_NS6_INS7_ISA_SB_Lm4ESD_iEESH_SB_Lm5ESD_iEEiiiiiiiii
    .private_segment_fixed_size: 0
    .sgpr_count:     54
    .sgpr_spill_count: 0
    .symbol:         _ZN2at6native12_GLOBAL__N_144conv_depthwise3d_cuda_backward_weight_kernelIffLi2ELi2EEEvN5torch10headeronly6detail27GenericPackedTensorAccessorINS5_14TensorAccessorIN3c108ArrayRefIlEEKT_Lm4ENS4_16DefaultPtrTraitsEiEENS_6detail16IndexBoundsCheckILm5EiEESC_Lm5ESD_iEESI_NS6_INS7_ISA_SB_Lm4ESD_iEESH_SB_Lm5ESD_iEEiiiiiiiii.kd
    .uniform_work_group_size: 1
    .uses_dynamic_stack: false
    .vgpr_count:     20
    .vgpr_spill_count: 0
    .wavefront_size: 64
  - .agpr_count:     0
    .args:
      - .offset:         0
        .size:           48
        .value_kind:     by_value
      - .offset:         48
        .size:           48
        .value_kind:     by_value
      - .offset:         96
        .size:           48
        .value_kind:     by_value
      - .offset:         144
        .size:           4
        .value_kind:     by_value
      - .offset:         148
        .size:           4
        .value_kind:     by_value
      - .offset:         152
        .size:           4
        .value_kind:     by_value
      - .offset:         156
        .size:           4
        .value_kind:     by_value
      - .offset:         160
        .size:           4
        .value_kind:     by_value
      - .offset:         164
        .size:           4
        .value_kind:     by_value
      - .offset:         168
        .size:           4
        .value_kind:     by_value
      - .offset:         172
        .size:           4
        .value_kind:     by_value
      - .offset:         176
        .size:           4
        .value_kind:     by_value
      - .offset:         184
        .size:           4
        .value_kind:     hidden_block_count_x
      - .offset:         188
        .size:           4
        .value_kind:     hidden_block_count_y
      - .offset:         192
        .size:           4
        .value_kind:     hidden_block_count_z
      - .offset:         196
        .size:           2
        .value_kind:     hidden_group_size_x
      - .offset:         198
        .size:           2
        .value_kind:     hidden_group_size_y
      - .offset:         200
        .size:           2
        .value_kind:     hidden_group_size_z
      - .offset:         202
        .size:           2
        .value_kind:     hidden_remainder_x
      - .offset:         204
        .size:           2
        .value_kind:     hidden_remainder_y
      - .offset:         206
        .size:           2
        .value_kind:     hidden_remainder_z
      - .offset:         224
        .size:           8
        .value_kind:     hidden_global_offset_x
      - .offset:         232
        .size:           8
        .value_kind:     hidden_global_offset_y
      - .offset:         240
        .size:           8
        .value_kind:     hidden_global_offset_z
      - .offset:         248
        .size:           2
        .value_kind:     hidden_grid_dims
      - .offset:         304
        .size:           4
        .value_kind:     hidden_dynamic_lds_size
    .group_segment_fixed_size: 0
    .kernarg_segment_align: 8
    .kernarg_segment_size: 440
    .language:       OpenCL C
    .language_version:
      - 2
      - 0
    .max_flat_workgroup_size: 1024
    .name:           _ZN2at6native12_GLOBAL__N_144conv_depthwise3d_cuda_backward_weight_kernelIffLin1ELin1EEEvN5torch10headeronly6detail27GenericPackedTensorAccessorINS5_14TensorAccessorIN3c108ArrayRefIlEEKT_Lm4ENS4_16DefaultPtrTraitsEiEENS_6detail16IndexBoundsCheckILm5EiEESC_Lm5ESD_iEESI_NS6_INS7_ISA_SB_Lm4ESD_iEESH_SB_Lm5ESD_iEEiiiiiiiii
    .private_segment_fixed_size: 0
    .sgpr_count:     56
    .sgpr_spill_count: 0
    .symbol:         _ZN2at6native12_GLOBAL__N_144conv_depthwise3d_cuda_backward_weight_kernelIffLin1ELin1EEEvN5torch10headeronly6detail27GenericPackedTensorAccessorINS5_14TensorAccessorIN3c108ArrayRefIlEEKT_Lm4ENS4_16DefaultPtrTraitsEiEENS_6detail16IndexBoundsCheckILm5EiEESC_Lm5ESD_iEESI_NS6_INS7_ISA_SB_Lm4ESD_iEESH_SB_Lm5ESD_iEEiiiiiiiii.kd
    .uniform_work_group_size: 1
    .uses_dynamic_stack: false
    .vgpr_count:     20
    .vgpr_spill_count: 0
    .wavefront_size: 64
  - .agpr_count:     0
    .args:
      - .offset:         0
        .size:           48
        .value_kind:     by_value
      - .offset:         48
        .size:           48
        .value_kind:     by_value
      - .offset:         96
        .size:           48
        .value_kind:     by_value
      - .offset:         144
        .size:           4
        .value_kind:     by_value
      - .offset:         148
        .size:           4
        .value_kind:     by_value
      - .offset:         152
        .size:           4
        .value_kind:     by_value
      - .offset:         156
        .size:           4
        .value_kind:     by_value
      - .offset:         160
        .size:           4
        .value_kind:     by_value
      - .offset:         164
        .size:           4
        .value_kind:     by_value
      - .offset:         168
        .size:           4
        .value_kind:     by_value
      - .offset:         172
        .size:           4
        .value_kind:     by_value
      - .offset:         176
        .size:           4
        .value_kind:     by_value
      - .offset:         184
        .size:           4
        .value_kind:     hidden_block_count_x
      - .offset:         188
        .size:           4
        .value_kind:     hidden_block_count_y
      - .offset:         192
        .size:           4
        .value_kind:     hidden_block_count_z
      - .offset:         196
        .size:           2
        .value_kind:     hidden_group_size_x
      - .offset:         198
        .size:           2
        .value_kind:     hidden_group_size_y
      - .offset:         200
        .size:           2
        .value_kind:     hidden_group_size_z
      - .offset:         202
        .size:           2
        .value_kind:     hidden_remainder_x
      - .offset:         204
        .size:           2
        .value_kind:     hidden_remainder_y
      - .offset:         206
        .size:           2
        .value_kind:     hidden_remainder_z
      - .offset:         224
        .size:           8
        .value_kind:     hidden_global_offset_x
      - .offset:         232
        .size:           8
        .value_kind:     hidden_global_offset_y
      - .offset:         240
        .size:           8
        .value_kind:     hidden_global_offset_z
      - .offset:         248
        .size:           2
        .value_kind:     hidden_grid_dims
      - .offset:         304
        .size:           4
        .value_kind:     hidden_dynamic_lds_size
    .group_segment_fixed_size: 0
    .kernarg_segment_align: 8
    .kernarg_segment_size: 440
    .language:       OpenCL C
    .language_version:
      - 2
      - 0
    .max_flat_workgroup_size: 1024
    .name:           _ZN2at6native12_GLOBAL__N_144conv_depthwise3d_cuda_backward_weight_kernelIN3c104HalfEfLi1ELi1EEEvN5torch10headeronly6detail27GenericPackedTensorAccessorINS7_14TensorAccessorINS3_8ArrayRefIlEEKT_Lm4ENS6_16DefaultPtrTraitsEiEENS_6detail16IndexBoundsCheckILm5EiEESD_Lm5ESE_iEESJ_NS8_INS9_ISB_SC_Lm4ESE_iEESI_SC_Lm5ESE_iEEiiiiiiiii
    .private_segment_fixed_size: 0
    .sgpr_count:     54
    .sgpr_spill_count: 0
    .symbol:         _ZN2at6native12_GLOBAL__N_144conv_depthwise3d_cuda_backward_weight_kernelIN3c104HalfEfLi1ELi1EEEvN5torch10headeronly6detail27GenericPackedTensorAccessorINS7_14TensorAccessorINS3_8ArrayRefIlEEKT_Lm4ENS6_16DefaultPtrTraitsEiEENS_6detail16IndexBoundsCheckILm5EiEESD_Lm5ESE_iEESJ_NS8_INS9_ISB_SC_Lm4ESE_iEESI_SC_Lm5ESE_iEEiiiiiiiii.kd
    .uniform_work_group_size: 1
    .uses_dynamic_stack: false
    .vgpr_count:     20
    .vgpr_spill_count: 0
    .wavefront_size: 64
  - .agpr_count:     0
    .args:
      - .offset:         0
        .size:           48
        .value_kind:     by_value
      - .offset:         48
        .size:           48
        .value_kind:     by_value
      - .offset:         96
        .size:           48
        .value_kind:     by_value
      - .offset:         144
        .size:           4
        .value_kind:     by_value
      - .offset:         148
        .size:           4
        .value_kind:     by_value
      - .offset:         152
        .size:           4
        .value_kind:     by_value
      - .offset:         156
        .size:           4
        .value_kind:     by_value
      - .offset:         160
        .size:           4
        .value_kind:     by_value
      - .offset:         164
        .size:           4
        .value_kind:     by_value
      - .offset:         168
        .size:           4
        .value_kind:     by_value
      - .offset:         172
        .size:           4
        .value_kind:     by_value
      - .offset:         176
        .size:           4
        .value_kind:     by_value
      - .offset:         184
        .size:           4
        .value_kind:     hidden_block_count_x
      - .offset:         188
        .size:           4
        .value_kind:     hidden_block_count_y
      - .offset:         192
        .size:           4
        .value_kind:     hidden_block_count_z
      - .offset:         196
        .size:           2
        .value_kind:     hidden_group_size_x
      - .offset:         198
        .size:           2
        .value_kind:     hidden_group_size_y
      - .offset:         200
        .size:           2
        .value_kind:     hidden_group_size_z
      - .offset:         202
        .size:           2
        .value_kind:     hidden_remainder_x
      - .offset:         204
        .size:           2
        .value_kind:     hidden_remainder_y
      - .offset:         206
        .size:           2
        .value_kind:     hidden_remainder_z
      - .offset:         224
        .size:           8
        .value_kind:     hidden_global_offset_x
      - .offset:         232
        .size:           8
        .value_kind:     hidden_global_offset_y
      - .offset:         240
        .size:           8
        .value_kind:     hidden_global_offset_z
      - .offset:         248
        .size:           2
        .value_kind:     hidden_grid_dims
      - .offset:         304
        .size:           4
        .value_kind:     hidden_dynamic_lds_size
    .group_segment_fixed_size: 0
    .kernarg_segment_align: 8
    .kernarg_segment_size: 440
    .language:       OpenCL C
    .language_version:
      - 2
      - 0
    .max_flat_workgroup_size: 1024
    .name:           _ZN2at6native12_GLOBAL__N_144conv_depthwise3d_cuda_backward_weight_kernelIN3c104HalfEfLi2ELi2EEEvN5torch10headeronly6detail27GenericPackedTensorAccessorINS7_14TensorAccessorINS3_8ArrayRefIlEEKT_Lm4ENS6_16DefaultPtrTraitsEiEENS_6detail16IndexBoundsCheckILm5EiEESD_Lm5ESE_iEESJ_NS8_INS9_ISB_SC_Lm4ESE_iEESI_SC_Lm5ESE_iEEiiiiiiiii
    .private_segment_fixed_size: 0
    .sgpr_count:     54
    .sgpr_spill_count: 0
    .symbol:         _ZN2at6native12_GLOBAL__N_144conv_depthwise3d_cuda_backward_weight_kernelIN3c104HalfEfLi2ELi2EEEvN5torch10headeronly6detail27GenericPackedTensorAccessorINS7_14TensorAccessorINS3_8ArrayRefIlEEKT_Lm4ENS6_16DefaultPtrTraitsEiEENS_6detail16IndexBoundsCheckILm5EiEESD_Lm5ESE_iEESJ_NS8_INS9_ISB_SC_Lm4ESE_iEESI_SC_Lm5ESE_iEEiiiiiiiii.kd
    .uniform_work_group_size: 1
    .uses_dynamic_stack: false
    .vgpr_count:     20
    .vgpr_spill_count: 0
    .wavefront_size: 64
  - .agpr_count:     0
    .args:
      - .offset:         0
        .size:           48
        .value_kind:     by_value
      - .offset:         48
        .size:           48
        .value_kind:     by_value
      - .offset:         96
        .size:           48
        .value_kind:     by_value
      - .offset:         144
        .size:           4
        .value_kind:     by_value
      - .offset:         148
        .size:           4
        .value_kind:     by_value
      - .offset:         152
        .size:           4
        .value_kind:     by_value
      - .offset:         156
        .size:           4
        .value_kind:     by_value
      - .offset:         160
        .size:           4
        .value_kind:     by_value
      - .offset:         164
        .size:           4
        .value_kind:     by_value
      - .offset:         168
        .size:           4
        .value_kind:     by_value
      - .offset:         172
        .size:           4
        .value_kind:     by_value
      - .offset:         176
        .size:           4
        .value_kind:     by_value
      - .offset:         184
        .size:           4
        .value_kind:     hidden_block_count_x
      - .offset:         188
        .size:           4
        .value_kind:     hidden_block_count_y
      - .offset:         192
        .size:           4
        .value_kind:     hidden_block_count_z
      - .offset:         196
        .size:           2
        .value_kind:     hidden_group_size_x
      - .offset:         198
        .size:           2
        .value_kind:     hidden_group_size_y
      - .offset:         200
        .size:           2
        .value_kind:     hidden_group_size_z
      - .offset:         202
        .size:           2
        .value_kind:     hidden_remainder_x
      - .offset:         204
        .size:           2
        .value_kind:     hidden_remainder_y
      - .offset:         206
        .size:           2
        .value_kind:     hidden_remainder_z
      - .offset:         224
        .size:           8
        .value_kind:     hidden_global_offset_x
      - .offset:         232
        .size:           8
        .value_kind:     hidden_global_offset_y
      - .offset:         240
        .size:           8
        .value_kind:     hidden_global_offset_z
      - .offset:         248
        .size:           2
        .value_kind:     hidden_grid_dims
      - .offset:         304
        .size:           4
        .value_kind:     hidden_dynamic_lds_size
    .group_segment_fixed_size: 0
    .kernarg_segment_align: 8
    .kernarg_segment_size: 440
    .language:       OpenCL C
    .language_version:
      - 2
      - 0
    .max_flat_workgroup_size: 1024
    .name:           _ZN2at6native12_GLOBAL__N_144conv_depthwise3d_cuda_backward_weight_kernelIN3c104HalfEfLin1ELin1EEEvN5torch10headeronly6detail27GenericPackedTensorAccessorINS7_14TensorAccessorINS3_8ArrayRefIlEEKT_Lm4ENS6_16DefaultPtrTraitsEiEENS_6detail16IndexBoundsCheckILm5EiEESD_Lm5ESE_iEESJ_NS8_INS9_ISB_SC_Lm4ESE_iEESI_SC_Lm5ESE_iEEiiiiiiiii
    .private_segment_fixed_size: 0
    .sgpr_count:     56
    .sgpr_spill_count: 0
    .symbol:         _ZN2at6native12_GLOBAL__N_144conv_depthwise3d_cuda_backward_weight_kernelIN3c104HalfEfLin1ELin1EEEvN5torch10headeronly6detail27GenericPackedTensorAccessorINS7_14TensorAccessorINS3_8ArrayRefIlEEKT_Lm4ENS6_16DefaultPtrTraitsEiEENS_6detail16IndexBoundsCheckILm5EiEESD_Lm5ESE_iEESJ_NS8_INS9_ISB_SC_Lm4ESE_iEESI_SC_Lm5ESE_iEEiiiiiiiii.kd
    .uniform_work_group_size: 1
    .uses_dynamic_stack: false
    .vgpr_count:     20
    .vgpr_spill_count: 0
    .wavefront_size: 64
  - .agpr_count:     0
    .args:
      - .offset:         0
        .size:           48
        .value_kind:     by_value
      - .offset:         48
        .size:           48
        .value_kind:     by_value
      - .offset:         96
        .size:           48
        .value_kind:     by_value
      - .offset:         144
        .size:           4
        .value_kind:     by_value
      - .offset:         148
        .size:           4
        .value_kind:     by_value
      - .offset:         152
        .size:           4
        .value_kind:     by_value
      - .offset:         156
        .size:           4
        .value_kind:     by_value
      - .offset:         160
        .size:           4
        .value_kind:     by_value
      - .offset:         164
        .size:           4
        .value_kind:     by_value
      - .offset:         168
        .size:           4
        .value_kind:     by_value
      - .offset:         172
        .size:           4
        .value_kind:     by_value
      - .offset:         176
        .size:           4
        .value_kind:     by_value
      - .offset:         184
        .size:           4
        .value_kind:     hidden_block_count_x
      - .offset:         188
        .size:           4
        .value_kind:     hidden_block_count_y
      - .offset:         192
        .size:           4
        .value_kind:     hidden_block_count_z
      - .offset:         196
        .size:           2
        .value_kind:     hidden_group_size_x
      - .offset:         198
        .size:           2
        .value_kind:     hidden_group_size_y
      - .offset:         200
        .size:           2
        .value_kind:     hidden_group_size_z
      - .offset:         202
        .size:           2
        .value_kind:     hidden_remainder_x
      - .offset:         204
        .size:           2
        .value_kind:     hidden_remainder_y
      - .offset:         206
        .size:           2
        .value_kind:     hidden_remainder_z
      - .offset:         224
        .size:           8
        .value_kind:     hidden_global_offset_x
      - .offset:         232
        .size:           8
        .value_kind:     hidden_global_offset_y
      - .offset:         240
        .size:           8
        .value_kind:     hidden_global_offset_z
      - .offset:         248
        .size:           2
        .value_kind:     hidden_grid_dims
      - .offset:         304
        .size:           4
        .value_kind:     hidden_dynamic_lds_size
    .group_segment_fixed_size: 0
    .kernarg_segment_align: 8
    .kernarg_segment_size: 440
    .language:       OpenCL C
    .language_version:
      - 2
      - 0
    .max_flat_workgroup_size: 1024
    .name:           _ZN2at6native12_GLOBAL__N_144conv_depthwise3d_cuda_backward_weight_kernelIN3c108BFloat16EfLi1ELi1EEEvN5torch10headeronly6detail27GenericPackedTensorAccessorINS7_14TensorAccessorINS3_8ArrayRefIlEEKT_Lm4ENS6_16DefaultPtrTraitsEiEENS_6detail16IndexBoundsCheckILm5EiEESD_Lm5ESE_iEESJ_NS8_INS9_ISB_SC_Lm4ESE_iEESI_SC_Lm5ESE_iEEiiiiiiiii
    .private_segment_fixed_size: 0
    .sgpr_count:     54
    .sgpr_spill_count: 0
    .symbol:         _ZN2at6native12_GLOBAL__N_144conv_depthwise3d_cuda_backward_weight_kernelIN3c108BFloat16EfLi1ELi1EEEvN5torch10headeronly6detail27GenericPackedTensorAccessorINS7_14TensorAccessorINS3_8ArrayRefIlEEKT_Lm4ENS6_16DefaultPtrTraitsEiEENS_6detail16IndexBoundsCheckILm5EiEESD_Lm5ESE_iEESJ_NS8_INS9_ISB_SC_Lm4ESE_iEESI_SC_Lm5ESE_iEEiiiiiiiii.kd
    .uniform_work_group_size: 1
    .uses_dynamic_stack: false
    .vgpr_count:     20
    .vgpr_spill_count: 0
    .wavefront_size: 64
  - .agpr_count:     0
    .args:
      - .offset:         0
        .size:           48
        .value_kind:     by_value
      - .offset:         48
        .size:           48
        .value_kind:     by_value
      - .offset:         96
        .size:           48
        .value_kind:     by_value
      - .offset:         144
        .size:           4
        .value_kind:     by_value
      - .offset:         148
        .size:           4
        .value_kind:     by_value
      - .offset:         152
        .size:           4
        .value_kind:     by_value
      - .offset:         156
        .size:           4
        .value_kind:     by_value
      - .offset:         160
        .size:           4
        .value_kind:     by_value
      - .offset:         164
        .size:           4
        .value_kind:     by_value
      - .offset:         168
        .size:           4
        .value_kind:     by_value
      - .offset:         172
        .size:           4
        .value_kind:     by_value
      - .offset:         176
        .size:           4
        .value_kind:     by_value
      - .offset:         184
        .size:           4
        .value_kind:     hidden_block_count_x
      - .offset:         188
        .size:           4
        .value_kind:     hidden_block_count_y
      - .offset:         192
        .size:           4
        .value_kind:     hidden_block_count_z
      - .offset:         196
        .size:           2
        .value_kind:     hidden_group_size_x
      - .offset:         198
        .size:           2
        .value_kind:     hidden_group_size_y
      - .offset:         200
        .size:           2
        .value_kind:     hidden_group_size_z
      - .offset:         202
        .size:           2
        .value_kind:     hidden_remainder_x
      - .offset:         204
        .size:           2
        .value_kind:     hidden_remainder_y
      - .offset:         206
        .size:           2
        .value_kind:     hidden_remainder_z
      - .offset:         224
        .size:           8
        .value_kind:     hidden_global_offset_x
      - .offset:         232
        .size:           8
        .value_kind:     hidden_global_offset_y
      - .offset:         240
        .size:           8
        .value_kind:     hidden_global_offset_z
      - .offset:         248
        .size:           2
        .value_kind:     hidden_grid_dims
      - .offset:         304
        .size:           4
        .value_kind:     hidden_dynamic_lds_size
    .group_segment_fixed_size: 0
    .kernarg_segment_align: 8
    .kernarg_segment_size: 440
    .language:       OpenCL C
    .language_version:
      - 2
      - 0
    .max_flat_workgroup_size: 1024
    .name:           _ZN2at6native12_GLOBAL__N_144conv_depthwise3d_cuda_backward_weight_kernelIN3c108BFloat16EfLi2ELi2EEEvN5torch10headeronly6detail27GenericPackedTensorAccessorINS7_14TensorAccessorINS3_8ArrayRefIlEEKT_Lm4ENS6_16DefaultPtrTraitsEiEENS_6detail16IndexBoundsCheckILm5EiEESD_Lm5ESE_iEESJ_NS8_INS9_ISB_SC_Lm4ESE_iEESI_SC_Lm5ESE_iEEiiiiiiiii
    .private_segment_fixed_size: 0
    .sgpr_count:     54
    .sgpr_spill_count: 0
    .symbol:         _ZN2at6native12_GLOBAL__N_144conv_depthwise3d_cuda_backward_weight_kernelIN3c108BFloat16EfLi2ELi2EEEvN5torch10headeronly6detail27GenericPackedTensorAccessorINS7_14TensorAccessorINS3_8ArrayRefIlEEKT_Lm4ENS6_16DefaultPtrTraitsEiEENS_6detail16IndexBoundsCheckILm5EiEESD_Lm5ESE_iEESJ_NS8_INS9_ISB_SC_Lm4ESE_iEESI_SC_Lm5ESE_iEEiiiiiiiii.kd
    .uniform_work_group_size: 1
    .uses_dynamic_stack: false
    .vgpr_count:     20
    .vgpr_spill_count: 0
    .wavefront_size: 64
  - .agpr_count:     0
    .args:
      - .offset:         0
        .size:           48
        .value_kind:     by_value
      - .offset:         48
        .size:           48
        .value_kind:     by_value
      - .offset:         96
        .size:           48
        .value_kind:     by_value
      - .offset:         144
        .size:           4
        .value_kind:     by_value
      - .offset:         148
        .size:           4
        .value_kind:     by_value
      - .offset:         152
        .size:           4
        .value_kind:     by_value
      - .offset:         156
        .size:           4
        .value_kind:     by_value
      - .offset:         160
        .size:           4
        .value_kind:     by_value
      - .offset:         164
        .size:           4
        .value_kind:     by_value
      - .offset:         168
        .size:           4
        .value_kind:     by_value
      - .offset:         172
        .size:           4
        .value_kind:     by_value
      - .offset:         176
        .size:           4
        .value_kind:     by_value
      - .offset:         184
        .size:           4
        .value_kind:     hidden_block_count_x
      - .offset:         188
        .size:           4
        .value_kind:     hidden_block_count_y
      - .offset:         192
        .size:           4
        .value_kind:     hidden_block_count_z
      - .offset:         196
        .size:           2
        .value_kind:     hidden_group_size_x
      - .offset:         198
        .size:           2
        .value_kind:     hidden_group_size_y
      - .offset:         200
        .size:           2
        .value_kind:     hidden_group_size_z
      - .offset:         202
        .size:           2
        .value_kind:     hidden_remainder_x
      - .offset:         204
        .size:           2
        .value_kind:     hidden_remainder_y
      - .offset:         206
        .size:           2
        .value_kind:     hidden_remainder_z
      - .offset:         224
        .size:           8
        .value_kind:     hidden_global_offset_x
      - .offset:         232
        .size:           8
        .value_kind:     hidden_global_offset_y
      - .offset:         240
        .size:           8
        .value_kind:     hidden_global_offset_z
      - .offset:         248
        .size:           2
        .value_kind:     hidden_grid_dims
      - .offset:         304
        .size:           4
        .value_kind:     hidden_dynamic_lds_size
    .group_segment_fixed_size: 0
    .kernarg_segment_align: 8
    .kernarg_segment_size: 440
    .language:       OpenCL C
    .language_version:
      - 2
      - 0
    .max_flat_workgroup_size: 1024
    .name:           _ZN2at6native12_GLOBAL__N_144conv_depthwise3d_cuda_backward_weight_kernelIN3c108BFloat16EfLin1ELin1EEEvN5torch10headeronly6detail27GenericPackedTensorAccessorINS7_14TensorAccessorINS3_8ArrayRefIlEEKT_Lm4ENS6_16DefaultPtrTraitsEiEENS_6detail16IndexBoundsCheckILm5EiEESD_Lm5ESE_iEESJ_NS8_INS9_ISB_SC_Lm4ESE_iEESI_SC_Lm5ESE_iEEiiiiiiiii
    .private_segment_fixed_size: 0
    .sgpr_count:     56
    .sgpr_spill_count: 0
    .symbol:         _ZN2at6native12_GLOBAL__N_144conv_depthwise3d_cuda_backward_weight_kernelIN3c108BFloat16EfLin1ELin1EEEvN5torch10headeronly6detail27GenericPackedTensorAccessorINS7_14TensorAccessorINS3_8ArrayRefIlEEKT_Lm4ENS6_16DefaultPtrTraitsEiEENS_6detail16IndexBoundsCheckILm5EiEESD_Lm5ESE_iEESJ_NS8_INS9_ISB_SC_Lm4ESE_iEESI_SC_Lm5ESE_iEEiiiiiiiii.kd
    .uniform_work_group_size: 1
    .uses_dynamic_stack: false
    .vgpr_count:     20
    .vgpr_spill_count: 0
    .wavefront_size: 64
amdhsa.target:   amdgcn-amd-amdhsa--gfx90a
amdhsa.version:
  - 1
  - 2
...

	.end_amdgpu_metadata
